;; amdgpu-corpus repo=ROCm/rocFFT kind=compiled arch=gfx1201 opt=O3
	.text
	.amdgcn_target "amdgcn-amd-amdhsa--gfx1201"
	.amdhsa_code_object_version 6
	.protected	fft_rtc_fwd_len1650_factors_11_2_3_5_5_wgs_110_tpt_110_halfLds_sp_op_CI_CI_unitstride_sbrr_C2R_dirReg ; -- Begin function fft_rtc_fwd_len1650_factors_11_2_3_5_5_wgs_110_tpt_110_halfLds_sp_op_CI_CI_unitstride_sbrr_C2R_dirReg
	.globl	fft_rtc_fwd_len1650_factors_11_2_3_5_5_wgs_110_tpt_110_halfLds_sp_op_CI_CI_unitstride_sbrr_C2R_dirReg
	.p2align	8
	.type	fft_rtc_fwd_len1650_factors_11_2_3_5_5_wgs_110_tpt_110_halfLds_sp_op_CI_CI_unitstride_sbrr_C2R_dirReg,@function
fft_rtc_fwd_len1650_factors_11_2_3_5_5_wgs_110_tpt_110_halfLds_sp_op_CI_CI_unitstride_sbrr_C2R_dirReg: ; @fft_rtc_fwd_len1650_factors_11_2_3_5_5_wgs_110_tpt_110_halfLds_sp_op_CI_CI_unitstride_sbrr_C2R_dirReg
; %bb.0:
	s_clause 0x2
	s_load_b128 s[8:11], s[0:1], 0x0
	s_load_b128 s[4:7], s[0:1], 0x58
	;; [unrolled: 1-line block ×3, first 2 shown]
	v_mul_u32_u24_e32 v1, 0x254, v0
	v_mov_b32_e32 v3, 0
	s_delay_alu instid0(VALU_DEP_2) | instskip(NEXT) | instid1(VALU_DEP_1)
	v_lshrrev_b32_e32 v1, 16, v1
	v_add_nc_u32_e32 v5, ttmp9, v1
	v_mov_b32_e32 v1, 0
	v_mov_b32_e32 v2, 0
	;; [unrolled: 1-line block ×3, first 2 shown]
	s_wait_kmcnt 0x0
	v_cmp_lt_u64_e64 s2, s[10:11], 2
	s_delay_alu instid0(VALU_DEP_1)
	s_and_b32 vcc_lo, exec_lo, s2
	s_cbranch_vccnz .LBB0_8
; %bb.1:
	s_load_b64 s[2:3], s[0:1], 0x10
	v_mov_b32_e32 v1, 0
	v_mov_b32_e32 v2, 0
	s_add_nc_u64 s[16:17], s[14:15], 8
	s_add_nc_u64 s[18:19], s[12:13], 8
	s_mov_b64 s[20:21], 1
	s_delay_alu instid0(VALU_DEP_1)
	v_dual_mov_b32 v45, v2 :: v_dual_mov_b32 v44, v1
	s_wait_kmcnt 0x0
	s_add_nc_u64 s[22:23], s[2:3], 8
	s_mov_b32 s3, 0
.LBB0_2:                                ; =>This Inner Loop Header: Depth=1
	s_load_b64 s[24:25], s[22:23], 0x0
                                        ; implicit-def: $vgpr48_vgpr49
	s_mov_b32 s2, exec_lo
	s_wait_kmcnt 0x0
	v_or_b32_e32 v4, s25, v6
	s_delay_alu instid0(VALU_DEP_1)
	v_cmpx_ne_u64_e32 0, v[3:4]
	s_wait_alu 0xfffe
	s_xor_b32 s26, exec_lo, s2
	s_cbranch_execz .LBB0_4
; %bb.3:                                ;   in Loop: Header=BB0_2 Depth=1
	s_cvt_f32_u32 s2, s24
	s_cvt_f32_u32 s27, s25
	s_sub_nc_u64 s[30:31], 0, s[24:25]
	s_wait_alu 0xfffe
	s_delay_alu instid0(SALU_CYCLE_1) | instskip(SKIP_1) | instid1(SALU_CYCLE_2)
	s_fmamk_f32 s2, s27, 0x4f800000, s2
	s_wait_alu 0xfffe
	v_s_rcp_f32 s2, s2
	s_delay_alu instid0(TRANS32_DEP_1) | instskip(SKIP_1) | instid1(SALU_CYCLE_2)
	s_mul_f32 s2, s2, 0x5f7ffffc
	s_wait_alu 0xfffe
	s_mul_f32 s27, s2, 0x2f800000
	s_wait_alu 0xfffe
	s_delay_alu instid0(SALU_CYCLE_2) | instskip(SKIP_1) | instid1(SALU_CYCLE_2)
	s_trunc_f32 s27, s27
	s_wait_alu 0xfffe
	s_fmamk_f32 s2, s27, 0xcf800000, s2
	s_cvt_u32_f32 s29, s27
	s_wait_alu 0xfffe
	s_delay_alu instid0(SALU_CYCLE_1) | instskip(SKIP_1) | instid1(SALU_CYCLE_2)
	s_cvt_u32_f32 s28, s2
	s_wait_alu 0xfffe
	s_mul_u64 s[34:35], s[30:31], s[28:29]
	s_wait_alu 0xfffe
	s_mul_hi_u32 s37, s28, s35
	s_mul_i32 s36, s28, s35
	s_mul_hi_u32 s2, s28, s34
	s_mul_i32 s33, s29, s34
	s_wait_alu 0xfffe
	s_add_nc_u64 s[36:37], s[2:3], s[36:37]
	s_mul_hi_u32 s27, s29, s34
	s_mul_hi_u32 s38, s29, s35
	s_add_co_u32 s2, s36, s33
	s_wait_alu 0xfffe
	s_add_co_ci_u32 s2, s37, s27
	s_mul_i32 s34, s29, s35
	s_add_co_ci_u32 s35, s38, 0
	s_wait_alu 0xfffe
	s_add_nc_u64 s[34:35], s[2:3], s[34:35]
	s_wait_alu 0xfffe
	v_add_co_u32 v4, s2, s28, s34
	s_delay_alu instid0(VALU_DEP_1) | instskip(SKIP_1) | instid1(VALU_DEP_1)
	s_cmp_lg_u32 s2, 0
	s_add_co_ci_u32 s29, s29, s35
	v_readfirstlane_b32 s28, v4
	s_wait_alu 0xfffe
	s_delay_alu instid0(VALU_DEP_1)
	s_mul_u64 s[30:31], s[30:31], s[28:29]
	s_wait_alu 0xfffe
	s_mul_hi_u32 s35, s28, s31
	s_mul_i32 s34, s28, s31
	s_mul_hi_u32 s2, s28, s30
	s_mul_i32 s33, s29, s30
	s_wait_alu 0xfffe
	s_add_nc_u64 s[34:35], s[2:3], s[34:35]
	s_mul_hi_u32 s27, s29, s30
	s_mul_hi_u32 s28, s29, s31
	s_wait_alu 0xfffe
	s_add_co_u32 s2, s34, s33
	s_add_co_ci_u32 s2, s35, s27
	s_mul_i32 s30, s29, s31
	s_add_co_ci_u32 s31, s28, 0
	s_wait_alu 0xfffe
	s_add_nc_u64 s[30:31], s[2:3], s[30:31]
	s_wait_alu 0xfffe
	v_add_co_u32 v4, s2, v4, s30
	s_delay_alu instid0(VALU_DEP_1) | instskip(SKIP_1) | instid1(VALU_DEP_1)
	s_cmp_lg_u32 s2, 0
	s_add_co_ci_u32 s2, s29, s31
	v_mul_hi_u32 v13, v5, v4
	s_wait_alu 0xfffe
	v_mad_co_u64_u32 v[7:8], null, v5, s2, 0
	v_mad_co_u64_u32 v[9:10], null, v6, v4, 0
	;; [unrolled: 1-line block ×3, first 2 shown]
	s_delay_alu instid0(VALU_DEP_3) | instskip(SKIP_1) | instid1(VALU_DEP_4)
	v_add_co_u32 v4, vcc_lo, v13, v7
	s_wait_alu 0xfffd
	v_add_co_ci_u32_e32 v7, vcc_lo, 0, v8, vcc_lo
	s_delay_alu instid0(VALU_DEP_2) | instskip(SKIP_1) | instid1(VALU_DEP_2)
	v_add_co_u32 v4, vcc_lo, v4, v9
	s_wait_alu 0xfffd
	v_add_co_ci_u32_e32 v4, vcc_lo, v7, v10, vcc_lo
	s_wait_alu 0xfffd
	v_add_co_ci_u32_e32 v7, vcc_lo, 0, v12, vcc_lo
	s_delay_alu instid0(VALU_DEP_2) | instskip(SKIP_1) | instid1(VALU_DEP_2)
	v_add_co_u32 v4, vcc_lo, v4, v11
	s_wait_alu 0xfffd
	v_add_co_ci_u32_e32 v9, vcc_lo, 0, v7, vcc_lo
	s_delay_alu instid0(VALU_DEP_2) | instskip(SKIP_1) | instid1(VALU_DEP_3)
	v_mul_lo_u32 v10, s25, v4
	v_mad_co_u64_u32 v[7:8], null, s24, v4, 0
	v_mul_lo_u32 v11, s24, v9
	s_delay_alu instid0(VALU_DEP_2) | instskip(NEXT) | instid1(VALU_DEP_2)
	v_sub_co_u32 v7, vcc_lo, v5, v7
	v_add3_u32 v8, v8, v11, v10
	s_delay_alu instid0(VALU_DEP_1) | instskip(SKIP_1) | instid1(VALU_DEP_1)
	v_sub_nc_u32_e32 v10, v6, v8
	s_wait_alu 0xfffd
	v_subrev_co_ci_u32_e64 v10, s2, s25, v10, vcc_lo
	v_add_co_u32 v11, s2, v4, 2
	s_wait_alu 0xf1ff
	v_add_co_ci_u32_e64 v12, s2, 0, v9, s2
	v_sub_co_u32 v13, s2, v7, s24
	v_sub_co_ci_u32_e32 v8, vcc_lo, v6, v8, vcc_lo
	s_wait_alu 0xf1ff
	v_subrev_co_ci_u32_e64 v10, s2, 0, v10, s2
	s_delay_alu instid0(VALU_DEP_3) | instskip(NEXT) | instid1(VALU_DEP_3)
	v_cmp_le_u32_e32 vcc_lo, s24, v13
	v_cmp_eq_u32_e64 s2, s25, v8
	s_wait_alu 0xfffd
	v_cndmask_b32_e64 v13, 0, -1, vcc_lo
	v_cmp_le_u32_e32 vcc_lo, s25, v10
	s_wait_alu 0xfffd
	v_cndmask_b32_e64 v14, 0, -1, vcc_lo
	v_cmp_le_u32_e32 vcc_lo, s24, v7
	;; [unrolled: 3-line block ×3, first 2 shown]
	s_wait_alu 0xfffd
	v_cndmask_b32_e64 v15, 0, -1, vcc_lo
	v_cmp_eq_u32_e32 vcc_lo, s25, v10
	s_wait_alu 0xf1ff
	s_delay_alu instid0(VALU_DEP_2)
	v_cndmask_b32_e64 v7, v15, v7, s2
	s_wait_alu 0xfffd
	v_cndmask_b32_e32 v10, v14, v13, vcc_lo
	v_add_co_u32 v13, vcc_lo, v4, 1
	s_wait_alu 0xfffd
	v_add_co_ci_u32_e32 v14, vcc_lo, 0, v9, vcc_lo
	s_delay_alu instid0(VALU_DEP_3) | instskip(SKIP_1) | instid1(VALU_DEP_2)
	v_cmp_ne_u32_e32 vcc_lo, 0, v10
	s_wait_alu 0xfffd
	v_cndmask_b32_e32 v8, v14, v12, vcc_lo
	v_cndmask_b32_e32 v10, v13, v11, vcc_lo
	v_cmp_ne_u32_e32 vcc_lo, 0, v7
	s_wait_alu 0xfffd
	s_delay_alu instid0(VALU_DEP_2)
	v_dual_cndmask_b32 v49, v9, v8 :: v_dual_cndmask_b32 v48, v4, v10
.LBB0_4:                                ;   in Loop: Header=BB0_2 Depth=1
	s_wait_alu 0xfffe
	s_and_not1_saveexec_b32 s2, s26
	s_cbranch_execz .LBB0_6
; %bb.5:                                ;   in Loop: Header=BB0_2 Depth=1
	v_cvt_f32_u32_e32 v4, s24
	s_sub_co_i32 s26, 0, s24
	v_mov_b32_e32 v49, v3
	s_delay_alu instid0(VALU_DEP_2) | instskip(NEXT) | instid1(TRANS32_DEP_1)
	v_rcp_iflag_f32_e32 v4, v4
	v_mul_f32_e32 v4, 0x4f7ffffe, v4
	s_delay_alu instid0(VALU_DEP_1) | instskip(SKIP_1) | instid1(VALU_DEP_1)
	v_cvt_u32_f32_e32 v4, v4
	s_wait_alu 0xfffe
	v_mul_lo_u32 v7, s26, v4
	s_delay_alu instid0(VALU_DEP_1) | instskip(NEXT) | instid1(VALU_DEP_1)
	v_mul_hi_u32 v7, v4, v7
	v_add_nc_u32_e32 v4, v4, v7
	s_delay_alu instid0(VALU_DEP_1) | instskip(NEXT) | instid1(VALU_DEP_1)
	v_mul_hi_u32 v4, v5, v4
	v_mul_lo_u32 v7, v4, s24
	v_add_nc_u32_e32 v8, 1, v4
	s_delay_alu instid0(VALU_DEP_2) | instskip(NEXT) | instid1(VALU_DEP_1)
	v_sub_nc_u32_e32 v7, v5, v7
	v_subrev_nc_u32_e32 v9, s24, v7
	v_cmp_le_u32_e32 vcc_lo, s24, v7
	s_wait_alu 0xfffd
	s_delay_alu instid0(VALU_DEP_2) | instskip(NEXT) | instid1(VALU_DEP_1)
	v_dual_cndmask_b32 v7, v7, v9 :: v_dual_cndmask_b32 v4, v4, v8
	v_cmp_le_u32_e32 vcc_lo, s24, v7
	s_delay_alu instid0(VALU_DEP_2) | instskip(SKIP_1) | instid1(VALU_DEP_1)
	v_add_nc_u32_e32 v8, 1, v4
	s_wait_alu 0xfffd
	v_cndmask_b32_e32 v48, v4, v8, vcc_lo
.LBB0_6:                                ;   in Loop: Header=BB0_2 Depth=1
	s_wait_alu 0xfffe
	s_or_b32 exec_lo, exec_lo, s2
	v_mul_lo_u32 v4, v49, s24
	s_delay_alu instid0(VALU_DEP_2)
	v_mul_lo_u32 v9, v48, s25
	s_load_b64 s[26:27], s[18:19], 0x0
	v_mad_co_u64_u32 v[7:8], null, v48, s24, 0
	s_load_b64 s[24:25], s[16:17], 0x0
	s_add_nc_u64 s[20:21], s[20:21], 1
	s_add_nc_u64 s[16:17], s[16:17], 8
	s_wait_alu 0xfffe
	v_cmp_ge_u64_e64 s2, s[20:21], s[10:11]
	s_add_nc_u64 s[18:19], s[18:19], 8
	s_add_nc_u64 s[22:23], s[22:23], 8
	v_add3_u32 v4, v8, v9, v4
	v_sub_co_u32 v5, vcc_lo, v5, v7
	s_wait_alu 0xfffd
	s_delay_alu instid0(VALU_DEP_2) | instskip(SKIP_2) | instid1(VALU_DEP_1)
	v_sub_co_ci_u32_e32 v4, vcc_lo, v6, v4, vcc_lo
	s_and_b32 vcc_lo, exec_lo, s2
	s_wait_kmcnt 0x0
	v_mul_lo_u32 v6, s26, v4
	v_mul_lo_u32 v7, s27, v5
	v_mad_co_u64_u32 v[1:2], null, s26, v5, v[1:2]
	v_mul_lo_u32 v4, s24, v4
	v_mul_lo_u32 v8, s25, v5
	v_mad_co_u64_u32 v[44:45], null, s24, v5, v[44:45]
	s_delay_alu instid0(VALU_DEP_4) | instskip(NEXT) | instid1(VALU_DEP_2)
	v_add3_u32 v2, v7, v2, v6
	v_add3_u32 v45, v8, v45, v4
	s_wait_alu 0xfffe
	s_cbranch_vccnz .LBB0_9
; %bb.7:                                ;   in Loop: Header=BB0_2 Depth=1
	v_dual_mov_b32 v5, v48 :: v_dual_mov_b32 v6, v49
	s_branch .LBB0_2
.LBB0_8:
	v_dual_mov_b32 v45, v2 :: v_dual_mov_b32 v44, v1
	v_dual_mov_b32 v49, v6 :: v_dual_mov_b32 v48, v5
.LBB0_9:
	s_load_b64 s[0:1], s[0:1], 0x28
	v_mul_hi_u32 v3, 0x253c826, v0
	s_lshl_b64 s[10:11], s[10:11], 3
                                        ; implicit-def: $vgpr46
	s_wait_alu 0xfffe
	s_add_nc_u64 s[2:3], s[14:15], s[10:11]
	s_wait_kmcnt 0x0
	v_cmp_gt_u64_e32 vcc_lo, s[0:1], v[48:49]
	v_cmp_le_u64_e64 s0, s[0:1], v[48:49]
	s_delay_alu instid0(VALU_DEP_1)
	s_and_saveexec_b32 s1, s0
	s_wait_alu 0xfffe
	s_xor_b32 s0, exec_lo, s1
; %bb.10:
	v_mul_u32_u24_e32 v1, 0x6e, v3
                                        ; implicit-def: $vgpr3
	s_delay_alu instid0(VALU_DEP_1)
	v_sub_nc_u32_e32 v46, v0, v1
                                        ; implicit-def: $vgpr0
                                        ; implicit-def: $vgpr1_vgpr2
; %bb.11:
	s_wait_alu 0xfffe
	s_or_saveexec_b32 s1, s0
	s_load_b64 s[2:3], s[2:3], 0x0
	s_xor_b32 exec_lo, exec_lo, s1
	s_cbranch_execz .LBB0_15
; %bb.12:
	s_add_nc_u64 s[10:11], s[12:13], s[10:11]
	v_lshlrev_b64_e32 v[1:2], 3, v[1:2]
	s_load_b64 s[10:11], s[10:11], 0x0
	s_wait_kmcnt 0x0
	v_mul_lo_u32 v6, s11, v48
	v_mul_lo_u32 v7, s10, v49
	v_mad_co_u64_u32 v[4:5], null, s10, v48, 0
	s_delay_alu instid0(VALU_DEP_1) | instskip(SKIP_1) | instid1(VALU_DEP_2)
	v_add3_u32 v5, v5, v7, v6
	v_mul_u32_u24_e32 v6, 0x6e, v3
	v_lshlrev_b64_e32 v[3:4], 3, v[4:5]
	s_delay_alu instid0(VALU_DEP_2) | instskip(NEXT) | instid1(VALU_DEP_1)
	v_sub_nc_u32_e32 v46, v0, v6
	v_lshlrev_b32_e32 v32, 3, v46
	s_delay_alu instid0(VALU_DEP_3) | instskip(SKIP_1) | instid1(VALU_DEP_4)
	v_add_co_u32 v0, s0, s4, v3
	s_wait_alu 0xf1ff
	v_add_co_ci_u32_e64 v3, s0, s5, v4, s0
	s_mov_b32 s4, exec_lo
	s_delay_alu instid0(VALU_DEP_2) | instskip(SKIP_1) | instid1(VALU_DEP_2)
	v_add_co_u32 v0, s0, v0, v1
	s_wait_alu 0xf1ff
	v_add_co_ci_u32_e64 v1, s0, v3, v2, s0
	s_delay_alu instid0(VALU_DEP_2) | instskip(SKIP_1) | instid1(VALU_DEP_2)
	v_add_co_u32 v2, s0, v0, v32
	s_wait_alu 0xf1ff
	v_add_co_ci_u32_e64 v3, s0, 0, v1, s0
	s_clause 0xe
	global_load_b64 v[4:5], v[2:3], off
	global_load_b64 v[6:7], v[2:3], off offset:880
	global_load_b64 v[8:9], v[2:3], off offset:1760
	;; [unrolled: 1-line block ×14, first 2 shown]
	v_add_nc_u32_e32 v32, 0, v32
	s_delay_alu instid0(VALU_DEP_1)
	v_add_nc_u32_e32 v33, 0x400, v32
	v_add_nc_u32_e32 v34, 0xc00, v32
	;; [unrolled: 1-line block ×6, first 2 shown]
	s_wait_loadcnt 0xd
	ds_store_2addr_b64 v32, v[4:5], v[6:7] offset1:110
	s_wait_loadcnt 0xb
	ds_store_2addr_b64 v33, v[8:9], v[10:11] offset0:92 offset1:202
	s_wait_loadcnt 0x9
	ds_store_2addr_b64 v34, v[12:13], v[14:15] offset0:56 offset1:166
	;; [unrolled: 2-line block ×6, first 2 shown]
	s_wait_loadcnt 0x0
	ds_store_b64 v32, v[2:3] offset:12320
	v_cmpx_eq_u32_e32 0x6d, v46
	s_cbranch_execz .LBB0_14
; %bb.13:
	global_load_b64 v[0:1], v[0:1], off offset:13200
	v_mov_b32_e32 v2, 0
	v_mov_b32_e32 v46, 0x6d
	s_wait_loadcnt 0x0
	ds_store_b64 v2, v[0:1] offset:13200
.LBB0_14:
	s_wait_alu 0xfffe
	s_or_b32 exec_lo, exec_lo, s4
.LBB0_15:
	s_delay_alu instid0(SALU_CYCLE_1)
	s_or_b32 exec_lo, exec_lo, s1
	v_lshlrev_b32_e32 v0, 3, v46
	global_wb scope:SCOPE_SE
	s_wait_dscnt 0x0
	s_wait_kmcnt 0x0
	s_barrier_signal -1
	s_barrier_wait -1
	global_inv scope:SCOPE_SE
	v_add_nc_u32_e32 v50, 0, v0
	v_sub_nc_u32_e32 v4, 0, v0
	s_mov_b32 s1, exec_lo
                                        ; implicit-def: $vgpr0_vgpr1
	ds_load_b32 v5, v50
	ds_load_b32 v6, v4 offset:13200
	s_wait_dscnt 0x0
	v_dual_sub_f32 v3, v5, v6 :: v_dual_add_f32 v2, v6, v5
	v_cmpx_ne_u32_e32 0, v46
	s_wait_alu 0xfffe
	s_xor_b32 s1, exec_lo, s1
	s_cbranch_execz .LBB0_17
; %bb.16:
	v_dual_mov_b32 v47, 0 :: v_dual_sub_f32 v8, v5, v6
	s_delay_alu instid0(VALU_DEP_1) | instskip(NEXT) | instid1(VALU_DEP_1)
	v_lshlrev_b64_e32 v[0:1], 3, v[46:47]
	v_add_co_u32 v0, s0, s8, v0
	s_wait_alu 0xf1ff
	s_delay_alu instid0(VALU_DEP_2)
	v_add_co_ci_u32_e64 v1, s0, s9, v1, s0
	global_load_b64 v[0:1], v[0:1], off offset:13112
	ds_load_b32 v2, v4 offset:13204
	ds_load_b32 v3, v50 offset:4
	v_add_f32_e32 v7, v6, v5
	s_wait_dscnt 0x0
	v_dual_add_f32 v9, v2, v3 :: v_dual_sub_f32 v2, v3, v2
	s_wait_loadcnt 0x0
	s_delay_alu instid0(VALU_DEP_1) | instskip(SKIP_2) | instid1(VALU_DEP_3)
	v_fma_f32 v6, v9, v1, -v2
	v_fma_f32 v5, -v8, v1, v7
	v_fma_f32 v10, v8, v1, v7
	v_fmac_f32_e32 v6, v8, v0
	v_fma_f32 v3, v9, v1, v2
	s_delay_alu instid0(VALU_DEP_4) | instskip(NEXT) | instid1(VALU_DEP_4)
	v_fmac_f32_e32 v5, v0, v9
	v_fma_f32 v2, -v0, v9, v10
	s_delay_alu instid0(VALU_DEP_3)
	v_dual_fmac_f32 v3, v8, v0 :: v_dual_mov_b32 v0, v46
	v_mov_b32_e32 v1, v47
	ds_store_b64 v4, v[5:6] offset:13200
.LBB0_17:
	s_wait_alu 0xfffe
	s_and_not1_saveexec_b32 s0, s1
	s_cbranch_execz .LBB0_19
; %bb.18:
	v_mov_b32_e32 v7, 0
	ds_load_b64 v[0:1], v7 offset:6600
	s_wait_dscnt 0x0
	v_dual_mul_f32 v6, -2.0, v1 :: v_dual_add_f32 v5, v0, v0
	v_mov_b32_e32 v0, 0
	v_mov_b32_e32 v1, 0
	ds_store_b64 v7, v[5:6] offset:6600
.LBB0_19:
	s_wait_alu 0xfffe
	s_or_b32 exec_lo, exec_lo, s0
	v_lshlrev_b64_e32 v[0:1], 3, v[0:1]
	s_add_nc_u64 s[0:1], s[8:9], 0x3338
	s_wait_alu 0xfffe
	s_delay_alu instid0(VALU_DEP_1) | instskip(SKIP_1) | instid1(VALU_DEP_2)
	v_add_co_u32 v0, s0, s0, v0
	s_wait_alu 0xf1ff
	v_add_co_ci_u32_e64 v1, s0, s1, v1, s0
	v_cmp_gt_u32_e64 s0, 55, v46
	s_clause 0x5
	global_load_b64 v[5:6], v[0:1], off offset:880
	global_load_b64 v[7:8], v[0:1], off offset:1760
	;; [unrolled: 1-line block ×6, first 2 shown]
	ds_store_b64 v50, v[2:3]
	ds_load_b64 v[2:3], v50 offset:880
	ds_load_b64 v[17:18], v4 offset:12320
	s_wait_dscnt 0x0
	v_add_f32_e32 v19, v2, v17
	v_sub_f32_e32 v21, v2, v17
	v_add_f32_e32 v20, v18, v3
	v_sub_f32_e32 v2, v3, v18
	s_wait_loadcnt 0x5
	s_delay_alu instid0(VALU_DEP_1) | instskip(SKIP_2) | instid1(VALU_DEP_3)
	v_fma_f32 v3, v20, v6, v2
	v_fma_f32 v22, v21, v6, v19
	v_fma_f32 v17, -v21, v6, v19
	v_fmac_f32_e32 v3, v21, v5
	v_fma_f32 v18, v20, v6, -v2
	s_delay_alu instid0(VALU_DEP_4) | instskip(NEXT) | instid1(VALU_DEP_4)
	v_fma_f32 v2, -v5, v20, v22
	v_fmac_f32_e32 v17, v5, v20
	s_delay_alu instid0(VALU_DEP_3)
	v_fmac_f32_e32 v18, v21, v5
	ds_store_b64 v50, v[2:3] offset:880
	ds_store_b64 v4, v[17:18] offset:12320
	ds_load_b64 v[2:3], v50 offset:1760
	ds_load_b64 v[5:6], v4 offset:11440
	s_wait_dscnt 0x0
	v_add_f32_e32 v18, v6, v3
	v_sub_f32_e32 v19, v2, v5
	v_dual_add_f32 v17, v2, v5 :: v_dual_sub_f32 v2, v3, v6
	s_wait_loadcnt 0x4
	s_delay_alu instid0(VALU_DEP_1) | instskip(SKIP_1) | instid1(VALU_DEP_2)
	v_fma_f32 v6, v18, v8, -v2
	v_fma_f32 v3, v18, v8, v2
	v_fmac_f32_e32 v6, v19, v7
	v_fma_f32 v20, v19, v8, v17
	v_fma_f32 v5, -v19, v8, v17
	s_delay_alu instid0(VALU_DEP_4) | instskip(NEXT) | instid1(VALU_DEP_3)
	v_fmac_f32_e32 v3, v19, v7
	v_fma_f32 v2, -v7, v18, v20
	s_delay_alu instid0(VALU_DEP_3)
	v_fmac_f32_e32 v5, v7, v18
	ds_store_b64 v50, v[2:3] offset:1760
	ds_store_b64 v4, v[5:6] offset:11440
	ds_load_b64 v[2:3], v50 offset:2640
	ds_load_b64 v[5:6], v4 offset:10560
	s_wait_dscnt 0x0
	v_add_f32_e32 v8, v6, v3
	v_add_f32_e32 v7, v2, v5
	v_dual_sub_f32 v17, v2, v5 :: v_dual_sub_f32 v2, v3, v6
	s_wait_loadcnt 0x3
	s_delay_alu instid0(VALU_DEP_1) | instskip(NEXT) | instid1(VALU_DEP_2)
	v_fma_f32 v18, v17, v10, v7
	v_fma_f32 v3, v8, v10, v2
	v_fma_f32 v5, -v17, v10, v7
	v_fma_f32 v6, v8, v10, -v2
	s_delay_alu instid0(VALU_DEP_4) | instskip(NEXT) | instid1(VALU_DEP_4)
	v_fma_f32 v2, -v9, v8, v18
	v_fmac_f32_e32 v3, v17, v9
	s_delay_alu instid0(VALU_DEP_4) | instskip(NEXT) | instid1(VALU_DEP_4)
	v_fmac_f32_e32 v5, v9, v8
	v_fmac_f32_e32 v6, v17, v9
	ds_store_b64 v50, v[2:3] offset:2640
	ds_store_b64 v4, v[5:6] offset:10560
	ds_load_b64 v[2:3], v50 offset:3520
	ds_load_b64 v[5:6], v4 offset:9680
	s_wait_dscnt 0x0
	v_add_f32_e32 v7, v2, v5
	v_add_f32_e32 v8, v6, v3
	v_dual_sub_f32 v9, v2, v5 :: v_dual_sub_f32 v2, v3, v6
	s_wait_loadcnt 0x2
	s_delay_alu instid0(VALU_DEP_1) | instskip(NEXT) | instid1(VALU_DEP_2)
	v_fma_f32 v10, v9, v12, v7
	v_fma_f32 v3, v8, v12, v2
	v_fma_f32 v5, -v9, v12, v7
	v_fma_f32 v6, v8, v12, -v2
	s_delay_alu instid0(VALU_DEP_4) | instskip(NEXT) | instid1(VALU_DEP_4)
	v_fma_f32 v2, -v11, v8, v10
	v_fmac_f32_e32 v3, v9, v11
	s_delay_alu instid0(VALU_DEP_3)
	v_dual_fmac_f32 v5, v11, v8 :: v_dual_fmac_f32 v6, v9, v11
	ds_store_b64 v50, v[2:3] offset:3520
	ds_store_b64 v4, v[5:6] offset:9680
	ds_load_b64 v[2:3], v50 offset:4400
	ds_load_b64 v[5:6], v4 offset:8800
	s_wait_dscnt 0x0
	v_add_f32_e32 v7, v2, v5
	v_sub_f32_e32 v9, v2, v5
	v_add_f32_e32 v8, v6, v3
	v_sub_f32_e32 v2, v3, v6
	s_wait_loadcnt 0x1
	s_delay_alu instid0(VALU_DEP_3) | instskip(SKIP_1) | instid1(VALU_DEP_3)
	v_fma_f32 v10, v9, v14, v7
	v_fma_f32 v5, -v9, v14, v7
	v_fma_f32 v3, v8, v14, v2
	s_delay_alu instid0(VALU_DEP_1) | instskip(SKIP_3) | instid1(VALU_DEP_3)
	v_fmac_f32_e32 v3, v9, v13
	v_fma_f32 v6, v8, v14, -v2
	v_fma_f32 v2, -v13, v8, v10
	v_fmac_f32_e32 v5, v13, v8
	v_fmac_f32_e32 v6, v9, v13
	ds_store_b64 v50, v[2:3] offset:4400
	ds_store_b64 v4, v[5:6] offset:8800
	ds_load_b64 v[2:3], v50 offset:5280
	ds_load_b64 v[5:6], v4 offset:7920
	s_wait_dscnt 0x0
	v_add_f32_e32 v7, v2, v5
	v_add_f32_e32 v8, v6, v3
	v_dual_sub_f32 v9, v2, v5 :: v_dual_sub_f32 v2, v3, v6
	s_wait_loadcnt 0x0
	s_delay_alu instid0(VALU_DEP_1) | instskip(NEXT) | instid1(VALU_DEP_2)
	v_fma_f32 v10, v9, v16, v7
	v_fma_f32 v3, v8, v16, v2
	v_fma_f32 v5, -v9, v16, v7
	v_fma_f32 v6, v8, v16, -v2
	s_delay_alu instid0(VALU_DEP_4) | instskip(NEXT) | instid1(VALU_DEP_4)
	v_fma_f32 v2, -v15, v8, v10
	v_fmac_f32_e32 v3, v9, v15
	s_delay_alu instid0(VALU_DEP_3)
	v_dual_fmac_f32 v5, v15, v8 :: v_dual_fmac_f32 v6, v9, v15
	ds_store_b64 v50, v[2:3] offset:5280
	ds_store_b64 v4, v[5:6] offset:7920
	s_and_saveexec_b32 s1, s0
	s_cbranch_execz .LBB0_21
; %bb.20:
	global_load_b64 v[0:1], v[0:1], off offset:6160
	ds_load_b64 v[2:3], v50 offset:6160
	ds_load_b64 v[5:6], v4 offset:7040
	s_wait_dscnt 0x0
	v_dual_add_f32 v8, v6, v3 :: v_dual_sub_f32 v3, v3, v6
	v_sub_f32_e32 v9, v2, v5
	v_add_f32_e32 v7, v2, v5
	s_wait_loadcnt 0x0
	s_delay_alu instid0(VALU_DEP_3) | instskip(SKIP_1) | instid1(VALU_DEP_2)
	v_fma_f32 v2, v8, v1, v3
	v_fma_f32 v6, v8, v1, -v3
	v_fmac_f32_e32 v2, v9, v0
	v_fma_f32 v10, v9, v1, v7
	v_fma_f32 v5, -v9, v1, v7
	s_delay_alu instid0(VALU_DEP_4) | instskip(NEXT) | instid1(VALU_DEP_3)
	v_fmac_f32_e32 v6, v9, v0
	v_fma_f32 v1, -v0, v8, v10
	s_delay_alu instid0(VALU_DEP_3)
	v_fmac_f32_e32 v5, v0, v8
	ds_store_b64 v50, v[1:2] offset:6160
	ds_store_b64 v4, v[5:6] offset:7040
.LBB0_21:
	s_wait_alu 0xfffe
	s_or_b32 exec_lo, exec_lo, s1
	v_add_nc_u32_e32 v47, 0x400, v50
	v_add_nc_u32_e32 v4, 0x800, v50
	global_wb scope:SCOPE_SE
	s_wait_dscnt 0x0
	s_barrier_signal -1
	s_barrier_wait -1
	global_inv scope:SCOPE_SE
	global_wb scope:SCOPE_SE
	s_barrier_signal -1
	s_barrier_wait -1
	global_inv scope:SCOPE_SE
	ds_load_2addr_b64 v[0:3], v50 offset1:110
	ds_load_2addr_b64 v[32:35], v47 offset0:22 offset1:132
	ds_load_2addr_b64 v[20:23], v4 offset0:44 offset1:154
	s_mov_b32 s4, exec_lo
	s_wait_dscnt 0x1
	v_dual_add_f32 v11, v1, v33 :: v_dual_add_f32 v10, v0, v32
	v_add_nc_u32_e32 v4, 0x2c00, v50
	s_wait_dscnt 0x0
	s_delay_alu instid0(VALU_DEP_2) | instskip(NEXT) | instid1(VALU_DEP_3)
	v_dual_add_f32 v56, v11, v21 :: v_dual_add_nc_u32 v51, 0xc00, v50
	v_add_f32_e32 v55, v10, v20
	ds_load_2addr_b64 v[4:7], v4 offset0:92 offset1:202
	ds_load_2addr_b64 v[40:43], v51 offset0:66 offset1:176
	v_add_nc_u32_e32 v8, 0x1000, v50
	v_add_nc_u32_e32 v54, 0x1400, v50
	;; [unrolled: 1-line block ×4, first 2 shown]
	s_wait_dscnt 0x1
	v_add_f32_e32 v57, v4, v32
	s_wait_dscnt 0x0
	v_add_f32_e32 v56, v56, v41
	ds_load_2addr_b64 v[36:39], v8 offset0:88 offset1:198
	v_add_f32_e32 v55, v55, v40
	ds_load_2addr_b64 v[28:31], v54 offset0:110 offset1:220
	v_add_nc_u32_e32 v8, 0x1800, v50
	v_add_nc_u32_e32 v52, 0x2000, v50
	v_sub_f32_e32 v58, v33, v5
	v_dual_add_f32 v33, v5, v33 :: v_dual_sub_f32 v32, v32, v4
	s_delay_alu instid0(VALU_DEP_2) | instskip(SKIP_1) | instid1(VALU_DEP_3)
	v_mul_f32_e32 v59, 0xbf0a6770, v58
	v_mul_f32_e32 v61, 0xbf68dda4, v58
	;; [unrolled: 1-line block ×3, first 2 shown]
	v_dual_mul_f32 v71, 0xbf4178ce, v32 :: v_dual_mul_f32 v68, 0xbf4178ce, v58
	s_delay_alu instid0(VALU_DEP_4) | instskip(SKIP_2) | instid1(VALU_DEP_4)
	v_fma_f32 v64, 0x3f575c64, v57, -v59
	v_fmac_f32_e32 v59, 0x3f575c64, v57
	v_fma_f32 v66, 0x3ed4b147, v57, -v61
	v_fma_f32 v70, 0xbf27a4f4, v57, -v68
	s_delay_alu instid0(VALU_DEP_4)
	v_add_f32_e32 v64, v0, v64
	s_wait_dscnt 0x1
	v_add_f32_e32 v55, v55, v36
	ds_load_2addr_b64 v[24:27], v8 offset0:132 offset1:242
	ds_load_2addr_b64 v[16:19], v52 offset0:26 offset1:136
	v_add_f32_e32 v56, v56, v37
	ds_load_2addr_b64 v[12:15], v9 offset0:48 offset1:158
	ds_load_2addr_b64 v[8:11], v53 offset0:70 offset1:180
	v_dual_mul_f32 v62, 0xbf68dda4, v32 :: v_dual_add_f32 v59, v0, v59
	s_wait_dscnt 0x4
	v_dual_add_f32 v55, v55, v28 :: v_dual_add_f32 v56, v56, v29
	v_mul_f32_e32 v63, 0xbf7d64f0, v58
	s_delay_alu instid0(VALU_DEP_3)
	v_dual_fmamk_f32 v67, v33, 0x3ed4b147, v62 :: v_dual_add_f32 v66, v0, v66
	v_fma_f32 v62, 0x3ed4b147, v33, -v62
	global_wb scope:SCOPE_SE
	s_wait_dscnt 0x0
	s_barrier_signal -1
	s_barrier_wait -1
	global_inv scope:SCOPE_SE
	v_add_f32_e32 v62, v1, v62
	v_add_f32_e32 v70, v0, v70
	v_fmac_f32_e32 v68, 0xbf27a4f4, v57
	v_mul_f32_e32 v58, 0xbe903f40, v58
	v_dual_add_f32 v56, v56, v25 :: v_dual_add_f32 v55, v55, v24
	s_delay_alu instid0(VALU_DEP_3) | instskip(NEXT) | instid1(VALU_DEP_2)
	v_dual_sub_f32 v75, v21, v9 :: v_dual_add_f32 v68, v0, v68
	v_dual_add_f32 v56, v56, v17 :: v_dual_fmamk_f32 v65, v33, 0x3f575c64, v60
	v_add_f32_e32 v76, v8, v20
	v_fma_f32 v73, 0xbf75a155, v57, -v58
	s_delay_alu instid0(VALU_DEP_3) | instskip(NEXT) | instid1(VALU_DEP_4)
	v_dual_add_f32 v56, v56, v13 :: v_dual_add_f32 v55, v55, v16
	v_add_f32_e32 v65, v1, v65
	v_fma_f32 v60, 0x3f575c64, v33, -v60
	v_fmac_f32_e32 v61, 0x3ed4b147, v57
	s_delay_alu instid0(VALU_DEP_4) | instskip(SKIP_1) | instid1(VALU_DEP_4)
	v_dual_add_f32 v56, v56, v9 :: v_dual_add_f32 v55, v55, v12
	v_add_f32_e32 v9, v9, v21
	v_dual_add_f32 v60, v1, v60 :: v_dual_add_f32 v73, v0, v73
	s_delay_alu instid0(VALU_DEP_3) | instskip(NEXT) | instid1(VALU_DEP_4)
	v_add_f32_e32 v5, v56, v5
	v_add_f32_e32 v55, v55, v8
	v_fma_f32 v56, 0xbe11bafb, v57, -v63
	v_sub_f32_e32 v8, v20, v8
	v_mul_f32_e32 v20, 0xbf68dda4, v75
	s_delay_alu instid0(VALU_DEP_4) | instskip(NEXT) | instid1(VALU_DEP_4)
	v_dual_add_f32 v4, v55, v4 :: v_dual_add_f32 v55, v1, v67
	v_add_f32_e32 v56, v0, v56
	v_mul_f32_e32 v67, 0xbf7d64f0, v32
	v_mul_f32_e32 v32, 0xbe903f40, v32
	s_delay_alu instid0(VALU_DEP_2) | instskip(NEXT) | instid1(VALU_DEP_2)
	v_fmamk_f32 v69, v33, 0xbe11bafb, v67
	v_fmamk_f32 v74, v33, 0xbf75a155, v32
	v_fma_f32 v67, 0xbe11bafb, v33, -v67
	s_delay_alu instid0(VALU_DEP_3) | instskip(NEXT) | instid1(VALU_DEP_3)
	v_add_f32_e32 v69, v1, v69
	v_dual_add_f32 v74, v1, v74 :: v_dual_add_f32 v61, v0, v61
	v_fmamk_f32 v72, v33, 0xbf27a4f4, v71
	v_fmac_f32_e32 v63, 0xbe11bafb, v57
	v_fma_f32 v71, 0xbf27a4f4, v33, -v71
	v_add_f32_e32 v67, v1, v67
	s_delay_alu instid0(VALU_DEP_3) | instskip(NEXT) | instid1(VALU_DEP_3)
	v_dual_add_f32 v72, v1, v72 :: v_dual_add_f32 v63, v0, v63
	v_add_f32_e32 v71, v1, v71
	v_fma_f32 v32, 0xbf75a155, v33, -v32
	v_fmac_f32_e32 v58, 0xbf75a155, v57
	v_fma_f32 v33, 0x3ed4b147, v76, -v20
	v_fmac_f32_e32 v20, 0x3ed4b147, v76
	s_delay_alu instid0(VALU_DEP_4) | instskip(NEXT) | instid1(VALU_DEP_4)
	v_add_f32_e32 v1, v1, v32
	v_dual_mul_f32 v21, 0xbf68dda4, v8 :: v_dual_add_f32 v0, v0, v58
	s_delay_alu instid0(VALU_DEP_4) | instskip(SKIP_1) | instid1(VALU_DEP_3)
	v_dual_mul_f32 v32, 0xbf4178ce, v75 :: v_dual_add_f32 v33, v33, v64
	v_mul_f32_e32 v64, 0xbf4178ce, v8
	v_fmamk_f32 v57, v9, 0x3ed4b147, v21
	v_fma_f32 v21, 0x3ed4b147, v9, -v21
	s_delay_alu instid0(VALU_DEP_4) | instskip(SKIP_3) | instid1(VALU_DEP_4)
	v_fma_f32 v58, 0xbf27a4f4, v76, -v32
	v_add_f32_e32 v20, v20, v59
	v_mul_f32_e32 v59, 0x3e903f40, v75
	v_add_f32_e32 v57, v57, v65
	v_dual_add_f32 v21, v21, v60 :: v_dual_add_f32 v58, v58, v66
	s_delay_alu instid0(VALU_DEP_3) | instskip(SKIP_3) | instid1(VALU_DEP_3)
	v_fma_f32 v66, 0xbf75a155, v76, -v59
	v_fmac_f32_e32 v59, 0xbf75a155, v76
	v_fmamk_f32 v60, v9, 0xbf27a4f4, v64
	v_fma_f32 v64, 0xbf27a4f4, v9, -v64
	v_dual_add_f32 v59, v59, v63 :: v_dual_fmac_f32 v32, 0xbf27a4f4, v76
	s_delay_alu instid0(VALU_DEP_3) | instskip(NEXT) | instid1(VALU_DEP_3)
	v_add_f32_e32 v55, v60, v55
	v_dual_mul_f32 v65, 0x3e903f40, v8 :: v_dual_add_f32 v60, v64, v62
	v_mul_f32_e32 v62, 0x3f7d64f0, v75
	s_delay_alu instid0(VALU_DEP_4) | instskip(NEXT) | instid1(VALU_DEP_3)
	v_add_f32_e32 v32, v32, v61
	v_fma_f32 v64, 0xbf75a155, v9, -v65
	v_fmamk_f32 v61, v9, 0xbf75a155, v65
	v_mul_f32_e32 v65, 0x3f7d64f0, v8
	v_add_f32_e32 v56, v66, v56
	v_fma_f32 v66, 0xbe11bafb, v76, -v62
	v_dual_add_f32 v63, v64, v67 :: v_dual_fmac_f32 v62, 0xbe11bafb, v76
	s_delay_alu instid0(VALU_DEP_4)
	v_fmamk_f32 v67, v9, 0xbe11bafb, v65
	v_add_f32_e32 v61, v61, v69
	v_fma_f32 v65, 0xbe11bafb, v9, -v65
	v_mul_f32_e32 v8, 0x3f0a6770, v8
	v_add_f32_e32 v62, v62, v68
	v_dual_mul_f32 v64, 0x3f0a6770, v75 :: v_dual_add_f32 v67, v67, v72
	s_delay_alu instid0(VALU_DEP_4) | instskip(SKIP_1) | instid1(VALU_DEP_3)
	v_add_f32_e32 v65, v65, v71
	v_dual_sub_f32 v71, v40, v12 :: v_dual_add_f32 v66, v66, v70
	v_fma_f32 v69, 0x3f575c64, v76, -v64
	v_fmamk_f32 v70, v9, 0x3f575c64, v8
	v_fmac_f32_e32 v64, 0x3f575c64, v76
	v_add_f32_e32 v12, v12, v40
	v_fma_f32 v8, 0x3f575c64, v9, -v8
	v_add_f32_e32 v9, v13, v41
	v_add_f32_e32 v68, v69, v73
	v_sub_f32_e32 v69, v41, v13
	v_dual_mul_f32 v13, 0xbf7d64f0, v71 :: v_dual_add_f32 v0, v64, v0
	v_add_f32_e32 v1, v8, v1
	s_delay_alu instid0(VALU_DEP_3) | instskip(SKIP_2) | instid1(VALU_DEP_3)
	v_dual_add_f32 v41, v70, v74 :: v_dual_mul_f32 v40, 0xbf7d64f0, v69
	v_mul_f32_e32 v64, 0x3e903f40, v69
	v_mul_f32_e32 v72, 0x3f68dda4, v71
	v_fma_f32 v70, 0xbe11bafb, v12, -v40
	v_fmamk_f32 v8, v9, 0xbe11bafb, v13
	v_fma_f32 v13, 0xbe11bafb, v9, -v13
	s_delay_alu instid0(VALU_DEP_3) | instskip(SKIP_1) | instid1(VALU_DEP_4)
	v_dual_fmac_f32 v40, 0xbe11bafb, v12 :: v_dual_add_f32 v33, v70, v33
	v_mul_f32_e32 v70, 0x3e903f40, v71
	v_add_f32_e32 v8, v8, v57
	v_fma_f32 v57, 0xbf75a155, v12, -v64
	s_delay_alu instid0(VALU_DEP_4) | instskip(NEXT) | instid1(VALU_DEP_2)
	v_dual_add_f32 v13, v13, v21 :: v_dual_add_f32 v20, v40, v20
	v_dual_mul_f32 v21, 0x3f68dda4, v69 :: v_dual_add_f32 v40, v57, v58
	v_fmamk_f32 v57, v9, 0xbf75a155, v70
	v_fma_f32 v58, 0xbf75a155, v9, -v70
	s_delay_alu instid0(VALU_DEP_3) | instskip(SKIP_1) | instid1(VALU_DEP_4)
	v_fma_f32 v70, 0x3ed4b147, v12, -v21
	v_fmac_f32_e32 v21, 0x3ed4b147, v12
	v_dual_add_f32 v55, v57, v55 :: v_dual_fmac_f32 v64, 0xbf75a155, v12
	s_delay_alu instid0(VALU_DEP_4) | instskip(NEXT) | instid1(VALU_DEP_3)
	v_add_f32_e32 v57, v58, v60
	v_add_f32_e32 v21, v21, v59
	v_fmamk_f32 v58, v9, 0x3ed4b147, v72
	v_add_f32_e32 v56, v70, v56
	v_add_f32_e32 v32, v64, v32
	v_mul_f32_e32 v64, 0xbf0a6770, v71
	s_delay_alu instid0(VALU_DEP_1) | instskip(SKIP_3) | instid1(VALU_DEP_4)
	v_dual_add_f32 v58, v58, v61 :: v_dual_fmamk_f32 v59, v9, 0x3f575c64, v64
	v_mul_f32_e32 v60, 0xbf0a6770, v69
	v_mul_f32_e32 v69, 0xbf4178ce, v69
	v_fma_f32 v64, 0x3f575c64, v9, -v64
	v_add_f32_e32 v59, v59, v67
	s_delay_alu instid0(VALU_DEP_4) | instskip(NEXT) | instid1(VALU_DEP_3)
	v_fma_f32 v61, 0x3f575c64, v12, -v60
	v_dual_mul_f32 v67, 0xbf4178ce, v71 :: v_dual_add_f32 v64, v64, v65
	s_delay_alu instid0(VALU_DEP_2) | instskip(SKIP_3) | instid1(VALU_DEP_3)
	v_add_f32_e32 v61, v61, v66
	v_fma_f32 v70, 0x3ed4b147, v9, -v72
	v_fma_f32 v66, 0xbf27a4f4, v12, -v69
	v_fmac_f32_e32 v69, 0xbf27a4f4, v12
	v_add_f32_e32 v63, v70, v63
	s_delay_alu instid0(VALU_DEP_3)
	v_dual_add_f32 v65, v66, v68 :: v_dual_fmamk_f32 v66, v9, 0xbf27a4f4, v67
	v_fmac_f32_e32 v60, 0x3f575c64, v12
	v_fma_f32 v9, 0xbf27a4f4, v9, -v67
	v_add_f32_e32 v68, v16, v36
	v_sub_f32_e32 v16, v36, v16
	v_add_f32_e32 v12, v17, v37
	s_delay_alu instid0(VALU_DEP_4) | instskip(NEXT) | instid1(VALU_DEP_3)
	v_dual_add_f32 v60, v60, v62 :: v_dual_add_f32 v1, v9, v1
	v_mul_f32_e32 v36, 0xbf4178ce, v16
	v_sub_f32_e32 v62, v37, v17
	s_delay_alu instid0(VALU_DEP_1) | instskip(NEXT) | instid1(VALU_DEP_1)
	v_mul_f32_e32 v70, 0xbf4178ce, v62
	v_fma_f32 v17, 0xbf27a4f4, v68, -v70
	s_delay_alu instid0(VALU_DEP_1) | instskip(SKIP_3) | instid1(VALU_DEP_3)
	v_add_f32_e32 v9, v17, v33
	v_fmamk_f32 v17, v12, 0xbf27a4f4, v36
	v_mul_f32_e32 v33, 0x3f7d64f0, v62
	v_fma_f32 v36, 0xbf27a4f4, v12, -v36
	v_add_f32_e32 v8, v17, v8
	s_delay_alu instid0(VALU_DEP_3) | instskip(NEXT) | instid1(VALU_DEP_3)
	v_fma_f32 v17, 0xbe11bafb, v68, -v33
	v_add_f32_e32 v13, v36, v13
	v_add_f32_e32 v37, v66, v41
	v_mul_f32_e32 v41, 0x3f7d64f0, v16
	s_delay_alu instid0(VALU_DEP_4) | instskip(SKIP_1) | instid1(VALU_DEP_3)
	v_dual_mul_f32 v36, 0xbf0a6770, v62 :: v_dual_add_f32 v17, v17, v40
	v_fmac_f32_e32 v33, 0xbe11bafb, v68
	v_fma_f32 v40, 0xbe11bafb, v12, -v41
	v_add_f32_e32 v0, v69, v0
	s_delay_alu instid0(VALU_DEP_2) | instskip(SKIP_1) | instid1(VALU_DEP_1)
	v_dual_add_f32 v32, v33, v32 :: v_dual_add_f32 v33, v40, v57
	v_mul_f32_e32 v40, 0xbe903f40, v62
	v_fma_f32 v57, 0xbf75a155, v68, -v40
	s_delay_alu instid0(VALU_DEP_1) | instskip(NEXT) | instid1(VALU_DEP_1)
	v_dual_fmac_f32 v70, 0xbf27a4f4, v68 :: v_dual_add_f32 v61, v57, v61
	v_add_f32_e32 v66, v70, v20
	v_fmamk_f32 v20, v12, 0xbe11bafb, v41
	s_delay_alu instid0(VALU_DEP_1) | instskip(SKIP_3) | instid1(VALU_DEP_3)
	v_add_f32_e32 v41, v20, v55
	v_fma_f32 v20, 0x3f575c64, v68, -v36
	v_fmac_f32_e32 v36, 0x3f575c64, v68
	v_mul_f32_e32 v55, 0xbf0a6770, v16
	v_add_f32_e32 v56, v20, v56
	s_delay_alu instid0(VALU_DEP_3) | instskip(NEXT) | instid1(VALU_DEP_3)
	v_add_f32_e32 v36, v36, v21
	v_fmamk_f32 v20, v12, 0x3f575c64, v55
	v_fma_f32 v55, 0x3f575c64, v12, -v55
	v_mul_f32_e32 v21, 0x3f68dda4, v62
	s_delay_alu instid0(VALU_DEP_2) | instskip(SKIP_2) | instid1(VALU_DEP_2)
	v_dual_add_f32 v58, v20, v58 :: v_dual_add_f32 v55, v55, v63
	v_mul_f32_e32 v67, 0xbe903f40, v16
	v_dual_mul_f32 v16, 0x3f68dda4, v16 :: v_dual_sub_f32 v63, v29, v25
	v_fmamk_f32 v20, v12, 0xbf75a155, v67
	v_fma_f32 v57, 0xbf75a155, v12, -v67
	s_delay_alu instid0(VALU_DEP_3)
	v_fmamk_f32 v62, v12, 0x3ed4b147, v16
	v_fma_f32 v12, 0x3ed4b147, v12, -v16
	v_add_f32_e32 v16, v25, v29
	v_dual_fmac_f32 v40, 0xbf75a155, v68 :: v_dual_add_f32 v59, v20, v59
	v_fma_f32 v20, 0x3ed4b147, v68, -v21
	v_fmac_f32_e32 v21, 0x3ed4b147, v68
	s_delay_alu instid0(VALU_DEP_3) | instskip(SKIP_1) | instid1(VALU_DEP_4)
	v_dual_add_f32 v37, v62, v37 :: v_dual_add_f32 v40, v40, v60
	v_add_f32_e32 v60, v57, v64
	v_add_f32_e32 v64, v20, v65
	v_sub_f32_e32 v65, v28, v24
	v_add_f32_e32 v62, v24, v28
	v_dual_mul_f32 v24, 0xbe903f40, v63 :: v_dual_add_f32 v77, v12, v1
	v_add_f32_e32 v75, v21, v0
	s_delay_alu instid0(VALU_DEP_4) | instskip(NEXT) | instid1(VALU_DEP_3)
	v_mul_f32_e32 v25, 0xbe903f40, v65
	v_fma_f32 v20, 0xbf75a155, v62, -v24
	s_delay_alu instid0(VALU_DEP_2) | instskip(NEXT) | instid1(VALU_DEP_2)
	v_fmamk_f32 v1, v16, 0xbf75a155, v25
	v_add_f32_e32 v20, v20, v9
	v_fma_f32 v9, 0xbf75a155, v16, -v25
	s_delay_alu instid0(VALU_DEP_3) | instskip(SKIP_1) | instid1(VALU_DEP_3)
	v_add_f32_e32 v21, v1, v8
	v_mul_f32_e32 v1, 0x3f0a6770, v65
	v_dual_mul_f32 v8, 0xbf4178ce, v63 :: v_dual_add_f32 v29, v9, v13
	s_delay_alu instid0(VALU_DEP_2) | instskip(SKIP_1) | instid1(VALU_DEP_2)
	v_fmamk_f32 v9, v16, 0x3f575c64, v1
	v_fma_f32 v1, 0x3f575c64, v16, -v1
	v_dual_mul_f32 v0, 0x3f0a6770, v63 :: v_dual_add_f32 v25, v9, v41
	s_delay_alu instid0(VALU_DEP_2)
	v_add_f32_e32 v33, v1, v33
	v_fma_f32 v13, 0xbf27a4f4, v62, -v8
	v_fmac_f32_e32 v8, 0xbf27a4f4, v62
	v_mul_f32_e32 v1, 0x3f68dda4, v63
	v_fmac_f32_e32 v24, 0xbf75a155, v62
	v_fma_f32 v12, 0x3f575c64, v62, -v0
	v_add_f32_e32 v57, v13, v56
	v_add_f32_e32 v67, v8, v36
	v_fma_f32 v8, 0x3ed4b147, v62, -v1
	v_fmac_f32_e32 v0, 0x3f575c64, v62
	v_fmac_f32_e32 v1, 0x3ed4b147, v62
	v_add_f32_e32 v28, v24, v66
	v_add_f32_e32 v24, v12, v17
	v_mul_f32_e32 v12, 0xbf4178ce, v65
	v_add_f32_e32 v69, v8, v61
	v_add_f32_e32 v32, v0, v32
	;; [unrolled: 1-line block ×4, first 2 shown]
	v_fma_f32 v9, 0xbf27a4f4, v16, -v12
	v_dual_mul_f32 v17, 0xbf7d64f0, v65 :: v_dual_sub_f32 v40, v34, v6
	s_delay_alu instid0(VALU_DEP_3) | instskip(NEXT) | instid1(VALU_DEP_3)
	v_dual_sub_f32 v56, v22, v10 :: v_dual_mul_f32 v13, 0xbe11bafb, v1
	v_add_f32_e32 v68, v9, v55
	v_mul_f32_e32 v9, 0xbf7d64f0, v63
	v_sub_f32_e32 v63, v38, v18
	s_delay_alu instid0(VALU_DEP_2) | instskip(NEXT) | instid1(VALU_DEP_1)
	v_fma_f32 v8, 0xbe11bafb, v62, -v9
	v_add_f32_e32 v73, v8, v64
	v_fmamk_f32 v0, v16, 0xbf27a4f4, v12
	v_fmamk_f32 v8, v16, 0xbe11bafb, v17
	v_dual_fmac_f32 v9, 0xbe11bafb, v62 :: v_dual_sub_f32 v62, v23, v11
	v_sub_f32_e32 v64, v43, v15
	s_delay_alu instid0(VALU_DEP_4) | instskip(SKIP_4) | instid1(VALU_DEP_4)
	v_add_f32_e32 v58, v0, v58
	v_mul_f32_e32 v0, 0x3f68dda4, v65
	v_add_f32_e32 v74, v8, v37
	v_add_f32_e32 v76, v9, v75
	;; [unrolled: 1-line block ×3, first 2 shown]
	v_dual_sub_f32 v75, v39, v19 :: v_dual_fmamk_f32 v12, v16, 0x3ed4b147, v0
	v_fma_f32 v0, 0x3ed4b147, v16, -v0
	v_fma_f32 v16, 0xbe11bafb, v16, -v17
	v_fmamk_f32 v17, v40, 0xbf7d64f0, v13
	v_mad_u32_u24 v65, 0x58, v46, 0
	v_add_f32_e32 v70, v12, v59
	v_add_f32_e32 v72, v0, v60
	v_sub_f32_e32 v60, v35, v7
	v_add_f32_e32 v55, v3, v17
	v_dual_mul_f32 v17, 0xbf75a155, v9 :: v_dual_add_f32 v0, v6, v34
	v_mul_f32_e32 v37, 0x3f68dda4, v64
	ds_store_2addr_b64 v65, v[4:5], v[20:21] offset1:1
	ds_store_2addr_b64 v65, v[24:25], v[57:58] offset0:2 offset1:3
	v_fmamk_f32 v20, v56, 0x3e903f40, v17
	v_dual_add_f32 v4, v14, v42 :: v_dual_add_f32 v77, v16, v77
	v_mul_f32_e32 v16, 0x3e903f40, v62
	v_mul_f32_e32 v36, 0xbf4178ce, v60
	s_delay_alu instid0(VALU_DEP_4) | instskip(NEXT) | instid1(VALU_DEP_4)
	v_add_f32_e32 v78, v20, v55
	v_fma_f32 v20, 0x3ed4b147, v4, -v37
	v_mul_f32_e32 v12, 0xbf7d64f0, v60
	ds_store_2addr_b64 v65, v[67:68], v[32:33] offset0:8 offset1:9
	ds_store_b64 v65, v[28:29] offset:80
	v_dual_sub_f32 v67, v30, v26 :: v_dual_mul_f32 v68, 0xbf0a6770, v64
	v_fma_f32 v8, 0xbe11bafb, v0, -v12
	s_delay_alu instid0(VALU_DEP_1) | instskip(SKIP_1) | instid1(VALU_DEP_1)
	v_add_f32_e32 v41, v2, v8
	v_add_f32_e32 v8, v10, v22
	v_fma_f32 v5, 0xbf75a155, v8, -v16
	s_delay_alu instid0(VALU_DEP_1) | instskip(SKIP_2) | instid1(VALU_DEP_3)
	v_add_f32_e32 v21, v5, v41
	v_mul_f32_e32 v41, 0xbf0a6770, v75
	v_add_f32_e32 v5, v15, v43
	v_add_f32_e32 v25, v20, v21
	;; [unrolled: 1-line block ×3, first 2 shown]
	v_fma_f32 v59, 0xbf27a4f4, v0, -v36
	s_delay_alu instid0(VALU_DEP_4)
	v_mul_f32_e32 v55, 0x3ed4b147, v5
	v_mul_f32_e32 v61, 0x3f7d64f0, v62
	ds_store_2addr_b64 v65, v[69:70], v[73:74] offset0:4 offset1:5
	ds_store_2addr_b64 v65, v[76:77], v[71:72] offset0:6 offset1:7
	v_dual_add_f32 v59, v2, v59 :: v_dual_mul_f32 v72, 0xbf27a4f4, v1
	v_fma_f32 v24, 0xbe11bafb, v8, -v61
	v_dual_add_f32 v20, v18, v38 :: v_dual_mul_f32 v57, 0x3f575c64, v21
	v_mul_f32_e32 v74, 0xbe11bafb, v9
	s_delay_alu instid0(VALU_DEP_4) | instskip(NEXT) | instid1(VALU_DEP_4)
	v_fmamk_f32 v33, v40, 0xbf4178ce, v72
	v_add_f32_e32 v70, v24, v59
	v_add_f32_e32 v24, v27, v31
	v_sub_f32_e32 v66, v42, v14
	v_fma_f32 v69, 0x3f575c64, v20, -v41
	v_fmamk_f32 v73, v63, 0xbf0a6770, v57
	v_add_f32_e32 v33, v3, v33
	v_mul_f32_e32 v59, 0xbf27a4f4, v24
	s_delay_alu instid0(VALU_DEP_4) | instskip(SKIP_1) | instid1(VALU_DEP_3)
	v_dual_fmamk_f32 v58, v66, 0x3f68dda4, v55 :: v_dual_add_f32 v69, v69, v25
	v_add_f32_e32 v25, v26, v30
	v_fmamk_f32 v29, v67, 0xbf4178ce, v59
	s_delay_alu instid0(VALU_DEP_3) | instskip(NEXT) | instid1(VALU_DEP_1)
	v_add_f32_e32 v71, v58, v78
	v_dual_add_f32 v32, v73, v71 :: v_dual_mul_f32 v73, 0x3f575c64, v5
	v_dual_sub_f32 v76, v31, v27 :: v_dual_mul_f32 v71, 0xbf75a155, v21
	s_delay_alu instid0(VALU_DEP_2) | instskip(NEXT) | instid1(VALU_DEP_1)
	v_dual_add_f32 v29, v29, v32 :: v_dual_fmamk_f32 v32, v56, 0x3f7d64f0, v74
	v_dual_fmamk_f32 v65, v66, 0xbf0a6770, v73 :: v_dual_add_f32 v32, v32, v33
	v_fma_f32 v33, 0x3f575c64, v4, -v68
	s_delay_alu instid0(VALU_DEP_1) | instskip(SKIP_1) | instid1(VALU_DEP_2)
	v_dual_add_f32 v33, v33, v70 :: v_dual_mul_f32 v58, 0xbf4178ce, v76
	v_mul_f32_e32 v70, 0x3ed4b147, v24
	v_fma_f32 v28, 0xbf27a4f4, v25, -v58
	s_delay_alu instid0(VALU_DEP_1) | instskip(SKIP_1) | instid1(VALU_DEP_2)
	v_dual_add_f32 v28, v28, v69 :: v_dual_mul_f32 v69, 0xbe903f40, v75
	v_add_f32_e32 v32, v65, v32
	v_fma_f32 v65, 0xbf75a155, v20, -v69
	s_delay_alu instid0(VALU_DEP_1) | instskip(SKIP_1) | instid1(VALU_DEP_1)
	v_add_f32_e32 v33, v65, v33
	v_fmamk_f32 v65, v63, 0xbe903f40, v71
	v_add_f32_e32 v77, v65, v32
	v_mul_f32_e32 v65, 0x3f68dda4, v76
	s_delay_alu instid0(VALU_DEP_1) | instskip(NEXT) | instid1(VALU_DEP_1)
	v_fma_f32 v32, 0x3ed4b147, v25, -v65
	v_dual_add_f32 v32, v32, v33 :: v_dual_fmamk_f32 v33, v67, 0x3f68dda4, v70
	s_delay_alu instid0(VALU_DEP_1)
	v_add_f32_e32 v33, v33, v77
	v_cmpx_gt_u32_e32 40, v46
	s_cbranch_execz .LBB0_23
; %bb.22:
	v_dual_add_f32 v35, v3, v35 :: v_dual_add_f32 v34, v2, v34
	v_mul_f32_e32 v77, 0xbe903f40, v40
	v_mul_f32_e32 v78, 0x3f0a6770, v56
	;; [unrolled: 1-line block ×3, first 2 shown]
	s_delay_alu instid0(VALU_DEP_4) | instskip(NEXT) | instid1(VALU_DEP_4)
	v_dual_add_f32 v23, v35, v23 :: v_dual_add_f32 v22, v34, v22
	v_fmamk_f32 v34, v1, 0xbf75a155, v77
	v_mul_f32_e32 v35, 0xbe903f40, v60
	v_fma_f32 v77, 0xbf75a155, v1, -v77
	s_delay_alu instid0(VALU_DEP_4) | instskip(NEXT) | instid1(VALU_DEP_4)
	v_dual_add_f32 v23, v23, v43 :: v_dual_add_f32 v22, v22, v42
	v_dual_fmamk_f32 v79, v9, 0x3f575c64, v78 :: v_dual_add_f32 v34, v3, v34
	s_delay_alu instid0(VALU_DEP_2) | instskip(SKIP_1) | instid1(VALU_DEP_4)
	v_dual_mul_f32 v42, 0x3f0a6770, v62 :: v_dual_add_f32 v23, v23, v39
	v_fma_f32 v43, 0xbf75a155, v0, -v35
	v_add_f32_e32 v22, v22, v38
	v_mul_f32_e32 v38, 0xbf4178ce, v66
	v_dual_add_f32 v34, v79, v34 :: v_dual_mul_f32 v79, 0xbf4178ce, v64
	s_delay_alu instid0(VALU_DEP_4) | instskip(SKIP_4) | instid1(VALU_DEP_4)
	v_add_f32_e32 v39, v2, v43
	v_fma_f32 v43, 0x3f575c64, v8, -v42
	v_add_f32_e32 v23, v23, v31
	v_dual_fmamk_f32 v31, v5, 0xbf27a4f4, v38 :: v_dual_add_f32 v22, v22, v30
	v_fma_f32 v78, 0x3f575c64, v9, -v78
	v_add_f32_e32 v39, v43, v39
	v_fma_f32 v43, 0xbf27a4f4, v4, -v79
	s_delay_alu instid0(VALU_DEP_4) | instskip(SKIP_1) | instid1(VALU_DEP_3)
	v_dual_add_f32 v30, v31, v34 :: v_dual_mul_f32 v31, 0x3f68dda4, v75
	v_fmamk_f32 v34, v21, 0x3ed4b147, v80
	v_dual_add_f32 v22, v22, v26 :: v_dual_add_f32 v39, v43, v39
	v_mul_f32_e32 v43, 0xbf7d64f0, v67
	v_add_f32_e32 v23, v23, v27
	v_fma_f32 v27, 0x3ed4b147, v20, -v31
	s_delay_alu instid0(VALU_DEP_4) | instskip(SKIP_1) | instid1(VALU_DEP_3)
	v_dual_mul_f32 v81, 0xbf68dda4, v40 :: v_dual_add_f32 v18, v22, v18
	v_add_f32_e32 v26, v34, v30
	v_dual_fmamk_f32 v30, v24, 0xbe11bafb, v43 :: v_dual_add_f32 v27, v27, v39
	s_delay_alu instid0(VALU_DEP_3) | instskip(NEXT) | instid1(VALU_DEP_4)
	v_fmamk_f32 v34, v1, 0x3ed4b147, v81
	v_dual_mul_f32 v39, 0xbf4178ce, v56 :: v_dual_add_f32 v14, v18, v14
	v_dual_add_f32 v19, v23, v19 :: v_dual_mul_f32 v22, 0xbf7d64f0, v76
	s_delay_alu instid0(VALU_DEP_2) | instskip(NEXT) | instid1(VALU_DEP_3)
	v_dual_add_f32 v23, v3, v34 :: v_dual_fmamk_f32 v34, v9, 0xbf27a4f4, v39
	v_dual_mul_f32 v85, 0x3f7d64f0, v63 :: v_dual_add_f32 v14, v14, v10
	s_delay_alu instid0(VALU_DEP_3) | instskip(NEXT) | instid1(VALU_DEP_3)
	v_dual_add_f32 v15, v19, v15 :: v_dual_mul_f32 v82, 0xbf68dda4, v60
	v_add_f32_e32 v23, v34, v23
	v_mul_f32_e32 v83, 0x3e903f40, v66
	v_fma_f32 v18, 0xbe11bafb, v25, -v22
	s_delay_alu instid0(VALU_DEP_4)
	v_add_f32_e32 v86, v15, v11
	v_fma_f32 v19, 0x3ed4b147, v0, -v82
	v_fmamk_f32 v15, v21, 0xbe11bafb, v85
	v_fmamk_f32 v34, v5, 0xbf75a155, v83
	v_mul_f32_e32 v88, 0x3f7d64f0, v75
	v_dual_mul_f32 v89, 0xbf0a6770, v40 :: v_dual_add_f32 v6, v14, v6
	v_dual_add_f32 v19, v2, v19 :: v_dual_mul_f32 v84, 0xbf4178ce, v62
	s_delay_alu instid0(VALU_DEP_4) | instskip(SKIP_2) | instid1(VALU_DEP_4)
	v_dual_add_f32 v11, v34, v23 :: v_dual_mul_f32 v62, 0xbf68dda4, v62
	v_add_f32_e32 v77, v3, v77
	v_fma_f32 v38, 0xbf27a4f4, v5, -v38
	v_fma_f32 v10, 0xbf27a4f4, v8, -v84
	v_mul_f32_e32 v87, 0x3e903f40, v64
	v_fma_f32 v91, 0x3ed4b147, v8, -v62
	v_mul_f32_e32 v64, 0xbf7d64f0, v64
	s_delay_alu instid0(VALU_DEP_4) | instskip(NEXT) | instid1(VALU_DEP_4)
	v_dual_fmac_f32 v31, 0x3ed4b147, v20 :: v_dual_add_f32 v10, v10, v19
	v_fma_f32 v19, 0xbf75a155, v4, -v87
	v_mul_f32_e32 v34, 0x3f0a6770, v67
	v_fma_f32 v43, 0xbe11bafb, v24, -v43
	v_dual_fmac_f32 v62, 0x3ed4b147, v8 :: v_dual_add_f32 v77, v78, v77
	s_delay_alu instid0(VALU_DEP_4)
	v_dual_add_f32 v19, v19, v10 :: v_dual_add_f32 v10, v18, v27
	v_dual_add_f32 v15, v15, v11 :: v_dual_fmamk_f32 v18, v1, 0x3f575c64, v89
	v_add_f32_e32 v11, v30, v26
	v_fma_f32 v90, 0xbe11bafb, v20, -v88
	v_fmamk_f32 v23, v24, 0x3f575c64, v34
	v_mul_f32_e32 v30, 0xbf0a6770, v60
	v_add_f32_e32 v18, v3, v18
	s_delay_alu instid0(VALU_DEP_4) | instskip(NEXT) | instid1(VALU_DEP_4)
	v_dual_mul_f32 v26, 0x3f0a6770, v76 :: v_dual_add_f32 v19, v90, v19
	v_add_f32_e32 v15, v23, v15
	v_mul_f32_e32 v27, 0xbf68dda4, v56
	v_fma_f32 v23, 0x3f575c64, v0, -v30
	v_dual_add_f32 v7, v86, v7 :: v_dual_mul_f32 v60, 0xbf7d64f0, v66
	v_fma_f32 v86, 0x3f575c64, v25, -v26
	s_delay_alu instid0(VALU_DEP_3) | instskip(SKIP_2) | instid1(VALU_DEP_3)
	v_dual_fmamk_f32 v14, v9, 0x3ed4b147, v27 :: v_dual_add_f32 v23, v2, v23
	v_mul_f32_e32 v75, 0xbf4178ce, v75
	v_mul_f32_e32 v76, 0xbe903f40, v76
	v_dual_fmac_f32 v35, 0xbf75a155, v0 :: v_dual_add_f32 v18, v14, v18
	v_add_f32_e32 v14, v86, v19
	v_add_f32_e32 v19, v91, v23
	v_fma_f32 v23, 0xbe11bafb, v4, -v64
	v_fmamk_f32 v90, v5, 0xbe11bafb, v60
	v_mul_f32_e32 v86, 0xbf4178ce, v63
	v_mul_f32_e32 v91, 0xbe903f40, v67
	v_fma_f32 v92, 0xbf75a155, v25, -v76
	s_delay_alu instid0(VALU_DEP_4) | instskip(SKIP_3) | instid1(VALU_DEP_3)
	v_dual_add_f32 v19, v23, v19 :: v_dual_add_f32 v18, v90, v18
	v_fma_f32 v23, 0xbf27a4f4, v20, -v75
	v_dual_fmamk_f32 v90, v21, 0xbf27a4f4, v86 :: v_dual_add_f32 v35, v2, v35
	v_fmac_f32_e32 v79, 0xbf27a4f4, v4
	v_dual_fmac_f32 v64, 0xbe11bafb, v4 :: v_dual_add_f32 v23, v23, v19
	s_delay_alu instid0(VALU_DEP_3) | instskip(SKIP_4) | instid1(VALU_DEP_4)
	v_add_f32_e32 v18, v90, v18
	v_fmamk_f32 v90, v24, 0xbf75a155, v91
	v_mul_f32_e32 v78, 0xbe11bafb, v0
	v_fmac_f32_e32 v88, 0xbe11bafb, v20
	v_fma_f32 v34, 0x3f575c64, v24, -v34
	v_dual_fmac_f32 v26, 0x3f575c64, v25 :: v_dual_add_f32 v19, v90, v18
	v_dual_add_f32 v18, v92, v23 :: v_dual_mul_f32 v23, 0xbf27a4f4, v0
	v_add_f32_e32 v38, v38, v77
	v_fma_f32 v77, 0x3ed4b147, v21, -v80
	v_mul_u32_u24_e32 v92, 0x58, v46
	s_delay_alu instid0(VALU_DEP_4) | instskip(SKIP_1) | instid1(VALU_DEP_4)
	v_dual_fmac_f32 v76, 0xbf75a155, v25 :: v_dual_add_f32 v23, v23, v36
	v_fmac_f32_e32 v42, 0x3f575c64, v8
	v_dual_add_f32 v38, v77, v38 :: v_dual_mul_f32 v77, 0x3e903f40, v56
	s_delay_alu instid0(VALU_DEP_3) | instskip(NEXT) | instid1(VALU_DEP_3)
	v_dual_mul_f32 v56, 0x3f7d64f0, v56 :: v_dual_add_f32 v23, v2, v23
	v_dual_mul_f32 v90, 0xbf7d64f0, v40 :: v_dual_add_f32 v35, v42, v35
	v_mul_f32_e32 v40, 0xbf4178ce, v40
	v_mul_f32_e32 v80, 0xbf75a155, v8
	s_delay_alu instid0(VALU_DEP_4) | instskip(NEXT) | instid1(VALU_DEP_4)
	v_sub_f32_e32 v56, v74, v56
	v_dual_mul_f32 v74, 0x3f68dda4, v66 :: v_dual_add_f32 v35, v79, v35
	s_delay_alu instid0(VALU_DEP_4) | instskip(SKIP_2) | instid1(VALU_DEP_4)
	v_sub_f32_e32 v40, v72, v40
	v_mul_f32_e32 v66, 0xbf0a6770, v66
	v_mul_f32_e32 v72, 0xbe11bafb, v8
	v_dual_mul_f32 v36, 0x3f575c64, v4 :: v_dual_add_f32 v31, v31, v35
	s_delay_alu instid0(VALU_DEP_3) | instskip(SKIP_1) | instid1(VALU_DEP_4)
	v_dual_mul_f32 v79, 0xbf27a4f4, v25 :: v_dual_sub_f32 v66, v73, v66
	v_dual_mul_f32 v73, 0xbf0a6770, v63 :: v_dual_add_f32 v40, v3, v40
	v_add_f32_e32 v61, v72, v61
	v_mul_f32_e32 v63, 0xbe903f40, v63
	v_dual_sub_f32 v17, v17, v77 :: v_dual_add_f32 v12, v78, v12
	s_delay_alu instid0(VALU_DEP_3) | instskip(SKIP_2) | instid1(VALU_DEP_3)
	v_dual_add_f32 v40, v56, v40 :: v_dual_add_f32 v61, v61, v23
	v_add_f32_e32 v23, v43, v38
	v_dual_sub_f32 v43, v13, v90 :: v_dual_add_f32 v36, v36, v68
	v_dual_add_f32 v40, v66, v40 :: v_dual_sub_f32 v63, v71, v63
	v_mul_f32_e32 v72, 0xbf75a155, v20
	v_dual_mul_f32 v42, 0x3ed4b147, v4 :: v_dual_mul_f32 v71, 0x3ed4b147, v25
	s_delay_alu instid0(VALU_DEP_4) | instskip(SKIP_4) | instid1(VALU_DEP_3)
	v_add_f32_e32 v36, v36, v61
	v_mul_f32_e32 v66, 0xbf4178ce, v67
	v_mul_f32_e32 v67, 0x3f68dda4, v67
	v_dual_add_f32 v35, v63, v40 :: v_dual_fmac_f32 v22, 0xbe11bafb, v25
	v_add_f32_e32 v16, v80, v16
	v_dual_fmac_f32 v87, 0xbf75a155, v4 :: v_dual_sub_f32 v38, v70, v67
	v_mul_f32_e32 v56, 0x3f575c64, v20
	v_fma_f32 v4, 0xbf75a155, v24, -v91
	v_fmac_f32_e32 v75, 0xbf27a4f4, v20
	s_delay_alu instid0(VALU_DEP_4) | instskip(SKIP_4) | instid1(VALU_DEP_4)
	v_add_f32_e32 v13, v38, v35
	v_add_f32_e32 v35, v3, v43
	v_fma_f32 v38, 0x3ed4b147, v1, -v81
	v_fma_f32 v1, 0x3f575c64, v1, -v89
	v_fmac_f32_e32 v82, 0x3ed4b147, v0
	v_dual_add_f32 v40, v72, v69 :: v_dual_add_f32 v17, v17, v35
	v_dual_sub_f32 v35, v55, v74 :: v_dual_add_f32 v22, v22, v31
	s_delay_alu instid0(VALU_DEP_4) | instskip(NEXT) | instid1(VALU_DEP_2)
	v_add_f32_e32 v1, v3, v1
	v_add_f32_e32 v17, v35, v17
	v_dual_sub_f32 v35, v57, v73 :: v_dual_add_f32 v12, v2, v12
	s_delay_alu instid0(VALU_DEP_1)
	v_dual_add_f32 v17, v35, v17 :: v_dual_add_f32 v12, v16, v12
	v_dual_add_f32 v16, v42, v37 :: v_dual_add_f32 v37, v3, v38
	v_fma_f32 v3, 0x3ed4b147, v9, -v27
	v_fmac_f32_e32 v30, 0x3f575c64, v0
	v_fma_f32 v38, 0xbf27a4f4, v9, -v39
	v_dual_add_f32 v31, v40, v36 :: v_dual_add_f32 v36, v71, v65
	s_delay_alu instid0(VALU_DEP_4)
	v_add_f32_e32 v1, v3, v1
	v_fma_f32 v3, 0xbe11bafb, v5, -v60
	v_add_f32_e32 v0, v2, v82
	v_add_f32_e32 v37, v38, v37
	v_fma_f32 v38, 0xbf75a155, v5, -v83
	v_add_f32_e32 v39, v79, v58
	v_add_f32_e32 v1, v3, v1
	v_fma_f32 v3, 0xbf27a4f4, v21, -v86
	v_fmac_f32_e32 v84, 0xbf27a4f4, v8
	v_dual_add_f32 v12, v16, v12 :: v_dual_add_f32 v37, v38, v37
	v_dual_add_f32 v16, v56, v41 :: v_dual_add_nc_u32 v5, 0, v92
	s_delay_alu instid0(VALU_DEP_4) | instskip(NEXT) | instid1(VALU_DEP_4)
	v_dual_add_f32 v3, v3, v1 :: v_dual_add_f32 v2, v2, v30
	v_add_f32_e32 v0, v84, v0
	v_fma_f32 v38, 0xbe11bafb, v21, -v85
	s_delay_alu instid0(VALU_DEP_4) | instskip(NEXT) | instid1(VALU_DEP_4)
	v_add_nc_u32_e32 v9, 0x2600, v5
	v_dual_add_f32 v3, v4, v3 :: v_dual_add_f32 v2, v62, v2
	s_delay_alu instid0(VALU_DEP_4) | instskip(SKIP_1) | instid1(VALU_DEP_3)
	v_dual_add_f32 v0, v87, v0 :: v_dual_add_nc_u32 v21, 0x25d0, v5
	v_dual_sub_f32 v35, v59, v66 :: v_dual_add_f32 v16, v16, v12
	v_add_f32_e32 v2, v64, v2
	v_dual_add_f32 v12, v36, v31 :: v_dual_add_f32 v31, v38, v37
	s_delay_alu instid0(VALU_DEP_4) | instskip(SKIP_1) | instid1(VALU_DEP_4)
	v_add_f32_e32 v0, v88, v0
	v_add_nc_u32_e32 v4, 0x25e0, v5
	v_add_f32_e32 v2, v75, v2
	v_add_nc_u32_e32 v8, 0x25f0, v5
	v_add_f32_e32 v17, v35, v17
	v_dual_add_f32 v16, v39, v16 :: v_dual_add_f32 v1, v34, v31
	v_add_f32_e32 v0, v26, v0
	v_add_nc_u32_e32 v20, 0x2610, v5
	v_add_f32_e32 v2, v76, v2
	ds_store_2addr_b64 v4, v[14:15], v[28:29] offset1:1
	ds_store_2addr_b64 v8, v[32:33], v[10:11] offset1:1
	;; [unrolled: 1-line block ×5, first 2 shown]
	ds_store_b64 v5, v[2:3] offset:9760
.LBB0_23:
	s_wait_alu 0xfffe
	s_or_b32 exec_lo, exec_lo, s4
	v_add_nc_u32_e32 v8, 0x1c00, v50
	global_wb scope:SCOPE_SE
	s_wait_dscnt 0x0
	s_barrier_signal -1
	s_barrier_wait -1
	global_inv scope:SCOPE_SE
	ds_load_2addr_b64 v[4:7], v50 offset1:110
	ds_load_2addr_b64 v[0:3], v54 offset0:20 offset1:185
	ds_load_2addr_b64 v[12:15], v8 offset0:39 offset1:149
	;; [unrolled: 1-line block ×6, first 2 shown]
	s_and_saveexec_b32 s1, s0
	s_cbranch_execz .LBB0_25
; %bb.24:
	ds_load_b64 v[28:29], v50 offset:6160
	ds_load_b64 v[32:33], v50 offset:12760
.LBB0_25:
	s_wait_alu 0xfffe
	s_or_b32 exec_lo, exec_lo, s1
	v_and_b32_e32 v31, 0xff, v46
	v_add_nc_u32_e32 v30, 0x6e, v46
	v_add_nc_u32_e32 v35, 0x1b8, v46
	;; [unrolled: 1-line block ×4, first 2 shown]
	v_mul_lo_u16 v31, 0x75, v31
	v_and_b32_e32 v39, 0xff, v30
	v_and_b32_e32 v42, 0xffff, v35
	;; [unrolled: 1-line block ×4, first 2 shown]
	v_lshrrev_b16 v41, 8, v31
	v_mul_lo_u16 v36, 0x75, v39
	v_add_nc_u32_e32 v34, 0x14a, v46
	v_add_nc_u32_e32 v38, 0xdc, v46
	v_mul_u32_u24_e32 v52, 0xba2f, v52
	v_sub_nc_u16 v47, v46, v41
	v_lshrrev_b16 v51, 8, v36
	v_mul_u32_u24_e32 v36, 0xba2f, v42
	v_mul_u32_u24_e32 v42, 0xba2f, v43
	s_delay_alu instid0(VALU_DEP_4) | instskip(NEXT) | instid1(VALU_DEP_4)
	v_lshrrev_b16 v43, 1, v47
	v_sub_nc_u16 v47, v30, v51
	s_delay_alu instid0(VALU_DEP_4) | instskip(NEXT) | instid1(VALU_DEP_4)
	v_lshrrev_b32_e32 v63, 19, v36
	v_lshrrev_b32_e32 v64, 19, v42
	s_delay_alu instid0(VALU_DEP_4) | instskip(NEXT) | instid1(VALU_DEP_4)
	v_and_b32_e32 v42, 0x7f, v43
	v_lshrrev_b16 v43, 1, v47
	v_lshrrev_b32_e32 v47, 19, v52
	v_mul_lo_u16 v52, v63, 11
	v_mul_lo_u16 v53, v64, 11
	v_add_nc_u16 v41, v42, v41
	v_and_b32_e32 v42, 0x7f, v43
	v_mul_lo_u16 v43, v47, 11
	v_sub_nc_u16 v52, v35, v52
	v_sub_nc_u16 v37, v37, v53
	v_lshrrev_b16 v65, 3, v41
	v_add_nc_u16 v41, v42, v51
	v_sub_nc_u16 v40, v40, v43
	v_and_b32_e32 v42, 0xffff, v52
	v_and_b32_e32 v37, 0xffff, v37
	;; [unrolled: 1-line block ×3, first 2 shown]
	v_lshrrev_b16 v66, 3, v41
	v_and_b32_e32 v41, 0xffff, v40
	v_lshlrev_b32_e32 v67, 3, v42
	v_lshlrev_b32_e32 v68, 3, v37
	v_mul_u32_u24_e32 v37, 0xba2f, v51
	v_mul_lo_u16 v43, v65, 11
	v_lshlrev_b32_e32 v69, 3, v41
	s_clause 0x1
	global_load_b64 v[41:42], v67, s[8:9]
	global_load_b64 v[51:52], v68, s[8:9]
	v_mul_lo_u16 v55, v66, 11
	v_sub_nc_u16 v43, v46, v43
	global_load_b64 v[53:54], v69, s[8:9]
	v_and_b32_e32 v31, 0xffff, v38
	v_and_b32_e32 v65, 0xffff, v65
	v_sub_nc_u16 v55, v30, v55
	v_and_b32_e32 v43, 0xff, v43
	v_and_b32_e32 v66, 0xffff, v66
	v_mul_u32_u24_e32 v40, 0xba2f, v31
	v_lshrrev_b32_e32 v71, 19, v37
	v_and_b32_e32 v58, 0xff, v55
	v_lshlrev_b32_e32 v43, 3, v43
	v_mul_u32_u24_e32 v65, 0xb0, v65
	v_lshrrev_b32_e32 v70, 19, v40
	v_mul_u32_u24_e32 v66, 0xb0, v66
	v_lshlrev_b32_e32 v72, 3, v58
	v_mul_lo_u16 v57, v71, 11
	v_mul_u32_u24_e32 v63, 0xb0, v63
	v_mul_lo_u16 v56, v70, 11
	v_mul_u32_u24_e32 v64, 0xb0, v64
	v_mul_u32_u24_e32 v70, 0xb0, v70
	;; [unrolled: 1-line block ×3, first 2 shown]
	v_add3_u32 v63, 0, v63, v67
	v_sub_nc_u16 v56, v38, v56
	v_mul_u32_u24_e32 v47, 0xb0, v47
	s_delay_alu instid0(VALU_DEP_2)
	v_and_b32_e32 v59, 0xffff, v56
	global_load_b64 v[55:56], v43, s[8:9]
	v_add3_u32 v43, 0, v65, v43
	v_add3_u32 v65, 0, v66, v72
	s_wait_loadcnt_dscnt 0x302
	v_mul_f32_e32 v66, v42, v19
	s_wait_loadcnt_dscnt 0x200
	v_dual_mul_f32 v42, v42, v18 :: v_dual_mul_f32 v67, v52, v25
	v_mul_f32_e32 v52, v52, v24
	s_delay_alu instid0(VALU_DEP_3) | instskip(NEXT) | instid1(VALU_DEP_3)
	v_fma_f32 v18, v41, v18, -v66
	v_fmac_f32_e32 v42, v41, v19
	s_delay_alu instid0(VALU_DEP_4) | instskip(NEXT) | instid1(VALU_DEP_4)
	v_fma_f32 v24, v51, v24, -v67
	v_fmac_f32_e32 v52, v51, v25
	s_delay_alu instid0(VALU_DEP_4) | instskip(NEXT) | instid1(VALU_DEP_3)
	v_sub_f32_e32 v18, v20, v18
	v_dual_sub_f32 v19, v21, v42 :: v_dual_sub_f32 v24, v22, v24
	s_delay_alu instid0(VALU_DEP_3) | instskip(SKIP_1) | instid1(VALU_DEP_4)
	v_sub_f32_e32 v25, v23, v52
	v_add3_u32 v47, 0, v47, v69
	v_fma_f32 v20, v20, 2.0, -v18
	s_delay_alu instid0(VALU_DEP_4)
	v_fma_f32 v21, v21, 2.0, -v19
	v_fma_f32 v22, v22, 2.0, -v24
	;; [unrolled: 1-line block ×3, first 2 shown]
	s_wait_loadcnt 0x0
	v_mul_f32_e32 v41, v56, v3
	v_sub_nc_u16 v57, v34, v57
	v_mul_f32_e32 v42, v56, v2
	s_delay_alu instid0(VALU_DEP_3) | instskip(NEXT) | instid1(VALU_DEP_3)
	v_fma_f32 v2, v55, v2, -v41
	v_and_b32_e32 v57, 0xffff, v57
	v_lshlrev_b32_e32 v73, 3, v59
	s_delay_alu instid0(VALU_DEP_4) | instskip(NEXT) | instid1(VALU_DEP_4)
	v_fmac_f32_e32 v42, v55, v3
	v_sub_f32_e32 v2, v4, v2
	s_delay_alu instid0(VALU_DEP_4)
	v_lshlrev_b32_e32 v74, 3, v57
	s_clause 0x2
	global_load_b64 v[57:58], v72, s[8:9]
	global_load_b64 v[59:60], v73, s[8:9]
	;; [unrolled: 1-line block ×3, first 2 shown]
	v_fma_f32 v4, v4, 2.0, -v2
	v_add3_u32 v70, 0, v70, v73
	global_wb scope:SCOPE_SE
	s_wait_loadcnt 0x0
	s_barrier_signal -1
	s_barrier_wait -1
	global_inv scope:SCOPE_SE
	v_mul_f32_e32 v3, v58, v13
	v_mul_f32_e32 v41, v58, v12
	v_mul_f32_e32 v51, v60, v15
	v_mul_f32_e32 v52, v60, v14
	s_delay_alu instid0(VALU_DEP_4)
	v_fma_f32 v12, v57, v12, -v3
	v_sub_f32_e32 v3, v5, v42
	v_add3_u32 v64, 0, v64, v68
	v_mul_f32_e32 v68, v54, v27
	v_dual_mul_f32 v54, v54, v26 :: v_dual_fmac_f32 v41, v57, v13
	v_fma_f32 v14, v59, v14, -v51
	v_fmac_f32_e32 v52, v59, v15
	s_delay_alu instid0(VALU_DEP_4) | instskip(NEXT) | instid1(VALU_DEP_4)
	v_fma_f32 v26, v53, v26, -v68
	v_dual_fmac_f32 v54, v53, v27 :: v_dual_mul_f32 v53, v62, v17
	v_sub_f32_e32 v13, v7, v41
	s_delay_alu instid0(VALU_DEP_4) | instskip(NEXT) | instid1(VALU_DEP_3)
	v_dual_sub_f32 v15, v9, v52 :: v_dual_sub_f32 v14, v8, v14
	v_dual_sub_f32 v27, v1, v54 :: v_dual_mul_f32 v54, v62, v16
	s_delay_alu instid0(VALU_DEP_4)
	v_fma_f32 v16, v61, v16, -v53
	v_sub_f32_e32 v26, v0, v26
	v_fma_f32 v5, v5, 2.0, -v3
	v_fma_f32 v7, v7, 2.0, -v13
	v_fmac_f32_e32 v54, v61, v17
	v_sub_f32_e32 v12, v6, v12
	v_sub_f32_e32 v16, v10, v16
	v_fma_f32 v8, v8, 2.0, -v14
	v_fma_f32 v9, v9, 2.0, -v15
	v_sub_f32_e32 v17, v11, v54
	v_fma_f32 v6, v6, 2.0, -v12
	v_add3_u32 v71, 0, v71, v74
	v_fma_f32 v10, v10, 2.0, -v16
	v_fma_f32 v0, v0, 2.0, -v26
	;; [unrolled: 1-line block ×4, first 2 shown]
	ds_store_2addr_b64 v43, v[4:5], v[2:3] offset1:11
	ds_store_2addr_b64 v65, v[6:7], v[12:13] offset1:11
	;; [unrolled: 1-line block ×7, first 2 shown]
	s_and_saveexec_b32 s1, s0
	s_cbranch_execz .LBB0_27
; %bb.26:
	v_add_nc_u32_e32 v0, 0x302, v46
	s_delay_alu instid0(VALU_DEP_1) | instskip(NEXT) | instid1(VALU_DEP_1)
	v_and_b32_e32 v1, 0xffff, v0
	v_mul_u32_u24_e32 v1, 0xba2f, v1
	s_delay_alu instid0(VALU_DEP_1) | instskip(NEXT) | instid1(VALU_DEP_1)
	v_lshrrev_b32_e32 v2, 19, v1
	v_mul_lo_u16 v1, v2, 11
	v_mul_lo_u16 v2, v2, 22
	s_delay_alu instid0(VALU_DEP_2) | instskip(NEXT) | instid1(VALU_DEP_2)
	v_sub_nc_u16 v0, v0, v1
	v_and_b32_e32 v2, 0xffff, v2
	s_delay_alu instid0(VALU_DEP_2) | instskip(NEXT) | instid1(VALU_DEP_2)
	v_and_b32_e32 v0, 0xffff, v0
	v_lshlrev_b32_e32 v5, 3, v2
	s_delay_alu instid0(VALU_DEP_2) | instskip(SKIP_4) | instid1(VALU_DEP_2)
	v_lshlrev_b32_e32 v4, 3, v0
	global_load_b64 v[0:1], v4, s[8:9]
	s_wait_loadcnt 0x0
	v_mul_f32_e32 v3, v32, v1
	v_mul_f32_e32 v1, v33, v1
	v_fmac_f32_e32 v3, v33, v0
	s_delay_alu instid0(VALU_DEP_2) | instskip(NEXT) | instid1(VALU_DEP_1)
	v_fma_f32 v0, v32, v0, -v1
	v_dual_sub_f32 v1, v29, v3 :: v_dual_sub_f32 v0, v28, v0
	v_add3_u32 v4, 0, v4, v5
	s_delay_alu instid0(VALU_DEP_2) | instskip(NEXT) | instid1(VALU_DEP_3)
	v_fma_f32 v3, v29, 2.0, -v1
	v_fma_f32 v2, v28, 2.0, -v0
	ds_store_2addr_b64 v4, v[2:3], v[0:1] offset1:11
.LBB0_27:
	s_wait_alu 0xfffe
	s_or_b32 exec_lo, exec_lo, s1
	v_lshrrev_b32_e32 v26, 20, v40
	v_lshrrev_b32_e32 v27, 20, v37
	;; [unrolled: 1-line block ×3, first 2 shown]
	global_wb scope:SCOPE_SE
	s_wait_dscnt 0x0
	s_barrier_signal -1
	v_mul_lo_u16 v0, v26, 22
	v_mul_lo_u16 v1, v27, 22
	;; [unrolled: 1-line block ×3, first 2 shown]
	s_barrier_wait -1
	global_inv scope:SCOPE_SE
	v_sub_nc_u16 v0, v38, v0
	v_sub_nc_u16 v1, v34, v1
	v_add_nc_u32_e32 v33, 0xc00, v50
	v_add_nc_u32_e32 v37, 0x1400, v50
	v_cmp_gt_u32_e64 s0, 0x42, v46
	v_and_b32_e32 v47, 0xffff, v0
	v_sub_nc_u16 v0, v35, v2
	v_and_b32_e32 v75, 0xffff, v1
	v_lshrrev_b16 v2, 1, v39
	v_add_nc_u32_e32 v35, 0x400, v50
	v_lshlrev_b32_e32 v1, 4, v47
	v_dual_mov_b32 v29, 0 :: v_dual_and_b32 v76, 0xffff, v0
	v_mul_lo_u16 v28, 0xf9, v39
	v_mul_u32_u24_e32 v31, 0xf83f, v31
	global_load_b128 v[16:19], v1, s[8:9] offset:88
	v_lshlrev_b32_e32 v0, 4, v75
	v_mul_u32_u24_e32 v81, 0x210, v27
	v_mul_u32_u24_e32 v80, 0x210, v26
	v_lshrrev_b32_e32 v27, 22, v31
	v_mul_u32_u24_e32 v31, 0x210, v43
	global_load_b128 v[12:15], v0, s[8:9] offset:88
	v_lshrrev_b16 v0, 1, v46
	v_lshlrev_b32_e32 v1, 4, v76
	v_add_nc_u32_e32 v32, 0x2000, v50
	v_mul_lo_u16 v82, 0x42, v27
	s_delay_alu instid0(VALU_DEP_4)
	v_and_b32_e32 v0, 0x7f, v0
	global_load_b128 v[20:23], v1, s[8:9] offset:88
	v_mul_lo_u16 v1, 0xbb, v2
	v_add_nc_u32_e32 v36, 0x2800, v50
	v_add_nc_u32_e32 v34, 0x1800, v50
	v_mul_lo_u16 v0, 0xbb, v0
	s_delay_alu instid0(VALU_DEP_4) | instskip(NEXT) | instid1(VALU_DEP_2)
	v_lshrrev_b16 v73, 11, v1
	v_lshrrev_b16 v77, 11, v0
	s_delay_alu instid0(VALU_DEP_2) | instskip(NEXT) | instid1(VALU_DEP_2)
	v_mul_lo_u16 v0, v73, 22
	v_mul_lo_u16 v1, v77, 22
	s_delay_alu instid0(VALU_DEP_2) | instskip(NEXT) | instid1(VALU_DEP_2)
	v_sub_nc_u16 v0, v30, v0
	v_sub_nc_u16 v1, v46, v1
	s_delay_alu instid0(VALU_DEP_2) | instskip(NEXT) | instid1(VALU_DEP_2)
	v_and_b32_e32 v78, 0xff, v0
	v_and_b32_e32 v79, 0xff, v1
	s_delay_alu instid0(VALU_DEP_2) | instskip(NEXT) | instid1(VALU_DEP_2)
	v_lshlrev_b32_e32 v0, 4, v78
	v_lshlrev_b32_e32 v1, 4, v79
	s_clause 0x1
	global_load_b128 v[8:11], v0, s[8:9] offset:88
	global_load_b128 v[4:7], v1, s[8:9] offset:88
	ds_load_b64 v[71:72], v50 offset:12320
	v_add_nc_u32_e32 v24, 0xffffffbe, v46
	ds_load_2addr_b64 v[0:3], v50 offset1:110
	ds_load_2addr_b64 v[39:42], v33 offset0:56 offset1:166
	ds_load_2addr_b64 v[51:54], v32 offset0:76 offset1:186
	;; [unrolled: 1-line block ×6, first 2 shown]
	v_and_b32_e32 v43, 0xffff, v73
	s_wait_alu 0xf1ff
	v_cndmask_b32_e64 v25, v24, v46, s0
	v_lshrrev_b16 v24, 14, v28
	global_wb scope:SCOPE_SE
	s_wait_loadcnt_dscnt 0x0
	s_barrier_signal -1
	v_mul_u32_u24_e32 v43, 0x210, v43
	v_lshlrev_b32_e32 v28, 2, v25
	v_mul_lo_u16 v26, 0x42, v24
	s_barrier_wait -1
	global_inv scope:SCOPE_SE
	v_and_b32_e32 v24, 0xffff, v24
	v_lshlrev_b64_e32 v[73:74], 3, v[28:29]
	v_and_b32_e32 v28, 0xffff, v77
	v_lshlrev_b32_e32 v77, 3, v78
	v_sub_nc_u16 v26, v30, v26
	s_delay_alu instid0(VALU_DEP_3) | instskip(NEXT) | instid1(VALU_DEP_3)
	v_mul_u32_u24_e32 v28, 0x210, v28
	v_add3_u32 v43, 0, v43, v77
	v_add_co_u32 v73, s0, s8, v73
	s_wait_alu 0xf1ff
	v_add_co_ci_u32_e64 v74, s0, s9, v74, s0
	v_cmp_lt_u32_e64 s0, 0x41, v46
	v_mul_f32_e32 v77, v64, v19
	v_dual_mul_f32 v19, v63, v19 :: v_dual_lshlrev_b32 v76, 3, v76
	s_delay_alu instid0(VALU_DEP_1) | instskip(NEXT) | instid1(VALU_DEP_2)
	v_fmac_f32_e32 v19, v64, v18
	v_add3_u32 v31, 0, v31, v76
	v_lshlrev_b32_e32 v76, 3, v79
	v_dual_mul_f32 v79, v66, v15 :: v_dual_mul_f32 v78, v68, v13
	v_dual_mul_f32 v13, v67, v13 :: v_dual_and_b32 v26, 0xff, v26
	s_delay_alu instid0(VALU_DEP_3) | instskip(SKIP_2) | instid1(VALU_DEP_4)
	v_add3_u32 v28, 0, v28, v76
	v_dual_mul_f32 v76, v58, v17 :: v_dual_lshlrev_b32 v47, 3, v47
	v_mul_f32_e32 v17, v57, v17
	v_fmac_f32_e32 v13, v68, v12
	s_delay_alu instid0(VALU_DEP_3) | instskip(NEXT) | instid1(VALU_DEP_4)
	v_fma_f32 v57, v57, v16, -v76
	v_add3_u32 v47, 0, v80, v47
	v_dual_mul_f32 v80, v65, v15 :: v_dual_mul_f32 v15, v70, v21
	v_mul_f32_e32 v21, v69, v21
	v_fmac_f32_e32 v17, v58, v16
	v_fma_f32 v16, v63, v18, -v77
	v_fma_f32 v18, v67, v12, -v78
	;; [unrolled: 1-line block ×3, first 2 shown]
	v_fmac_f32_e32 v21, v70, v20
	v_lshlrev_b32_e32 v75, 3, v75
	v_fma_f32 v58, v65, v14, -v79
	v_dual_fmac_f32 v80, v66, v14 :: v_dual_add_f32 v15, v57, v16
	v_add_f32_e32 v64, v61, v18
	s_delay_alu instid0(VALU_DEP_4) | instskip(SKIP_1) | instid1(VALU_DEP_4)
	v_add3_u32 v75, 0, v81, v75
	v_mul_f32_e32 v81, v72, v23
	v_dual_mul_f32 v23, v71, v23 :: v_dual_sub_f32 v66, v13, v80
	v_add_f32_e32 v68, v13, v80
	v_add_f32_e32 v14, v59, v57
	s_delay_alu instid0(VALU_DEP_4) | instskip(NEXT) | instid1(VALU_DEP_4)
	v_fma_f32 v20, v71, v22, -v81
	v_dual_fmac_f32 v23, v72, v22 :: v_dual_sub_f32 v22, v17, v19
	v_add_f32_e32 v72, v40, v21
	v_mul_f32_e32 v78, v9, v55
	s_delay_alu instid0(VALU_DEP_4) | instskip(SKIP_1) | instid1(VALU_DEP_3)
	v_add_f32_e32 v70, v12, v20
	v_dual_mul_f32 v84, v7, v51 :: v_dual_add_f32 v65, v18, v58
	v_dual_add_f32 v67, v62, v13 :: v_dual_fmac_f32 v78, v8, v56
	s_delay_alu instid0(VALU_DEP_2)
	v_dual_sub_f32 v71, v21, v23 :: v_dual_fmac_f32 v84, v6, v52
	v_fma_f32 v13, -0.5, v15, v59
	v_add_f32_e32 v21, v21, v23
	v_dual_sub_f32 v69, v18, v58 :: v_dual_add_f32 v18, v39, v12
	v_fma_f32 v39, -0.5, v70, v39
	v_mul_f32_e32 v83, v5, v41
	v_add_f32_e32 v63, v60, v17
	v_dual_add_f32 v17, v17, v19 :: v_dual_fmac_f32 v62, -0.5, v68
	v_mul_f32_e32 v79, v11, v53
	s_delay_alu instid0(VALU_DEP_4)
	v_fmac_f32_e32 v83, v4, v42
	v_sub_f32_e32 v57, v57, v16
	v_mul_f32_e32 v77, v9, v56
	v_mul_f32_e32 v9, v11, v54
	v_mul_f32_e32 v81, v5, v42
	v_add_f32_e32 v11, v14, v16
	v_fma_f32 v14, -0.5, v17, v60
	v_dual_add_f32 v17, v18, v20 :: v_dual_add_f32 v56, v1, v83
	v_fmac_f32_e32 v79, v10, v54
	v_mul_f32_e32 v5, v7, v52
	v_sub_f32_e32 v76, v12, v20
	v_fma_f32 v20, v10, v53, -v9
	v_fma_f32 v10, v4, v41, -v81
	v_sub_f32_e32 v42, v78, v79
	v_fmamk_f32 v4, v22, 0x3f5db3d7, v13
	v_fmac_f32_e32 v40, -0.5, v21
	v_fma_f32 v21, v6, v51, -v5
	v_dual_add_f32 v15, v64, v58 :: v_dual_add_f32 v16, v67, v80
	v_add_f32_e32 v12, v63, v19
	v_add_f32_e32 v52, v0, v10
	s_delay_alu instid0(VALU_DEP_4)
	v_add_f32_e32 v54, v10, v21
	v_dual_sub_f32 v10, v10, v21 :: v_dual_fmamk_f32 v5, v57, 0xbf5db3d7, v14
	v_fmac_f32_e32 v14, 0x3f5db3d7, v57
	v_fma_f32 v19, v8, v55, -v77
	v_add_f32_e32 v41, v3, v78
	v_fmac_f32_e32 v13, 0xbf5db3d7, v22
	v_dual_add_f32 v57, v83, v84 :: v_dual_add_f32 v18, v72, v23
	s_delay_alu instid0(VALU_DEP_4) | instskip(SKIP_3) | instid1(VALU_DEP_4)
	v_dual_add_f32 v22, v2, v19 :: v_dual_add_f32 v23, v19, v20
	v_sub_f32_e32 v53, v19, v20
	v_sub_f32_e32 v55, v83, v84
	v_fma_f32 v0, -0.5, v54, v0
	v_dual_add_f32 v19, v22, v20 :: v_dual_lshlrev_b32 v70, 3, v26
	v_dual_add_f32 v22, v56, v84 :: v_dual_add_f32 v51, v78, v79
	v_fma_f32 v1, -0.5, v57, v1
	v_fma_f32 v61, -0.5, v65, v61
	;; [unrolled: 1-line block ×3, first 2 shown]
	v_add_f32_e32 v21, v52, v21
	v_fmac_f32_e32 v3, -0.5, v51
	v_fmamk_f32 v51, v55, 0x3f5db3d7, v0
	v_fmamk_f32 v52, v10, 0xbf5db3d7, v1
	;; [unrolled: 1-line block ×3, first 2 shown]
	v_dual_fmac_f32 v61, 0xbf5db3d7, v66 :: v_dual_fmac_f32 v0, 0xbf5db3d7, v55
	v_fmac_f32_e32 v1, 0x3f5db3d7, v10
	v_fmamk_f32 v8, v71, 0x3f5db3d7, v39
	v_fmac_f32_e32 v39, 0xbf5db3d7, v71
	v_fmamk_f32 v9, v76, 0xbf5db3d7, v40
	v_fmac_f32_e32 v40, 0x3f5db3d7, v76
	v_dual_add_f32 v20, v41, v79 :: v_dual_fmamk_f32 v41, v42, 0x3f5db3d7, v2
	v_fmac_f32_e32 v2, 0xbf5db3d7, v42
	v_fmamk_f32 v42, v53, 0xbf5db3d7, v3
	v_fmac_f32_e32 v3, 0x3f5db3d7, v53
	v_fmamk_f32 v7, v69, 0xbf5db3d7, v62
	v_fmac_f32_e32 v62, 0x3f5db3d7, v69
	ds_store_2addr_b64 v28, v[21:22], v[51:52] offset1:22
	ds_store_b64 v28, v[0:1] offset:352
	ds_store_2addr_b64 v43, v[19:20], v[41:42] offset1:22
	ds_store_b64 v43, v[2:3] offset:352
	ds_store_2addr_b64 v47, v[11:12], v[4:5] offset1:22
	ds_store_b64 v47, v[13:14] offset:352
	ds_store_2addr_b64 v75, v[15:16], v[6:7] offset1:22
	ds_store_b64 v75, v[61:62] offset:352
	ds_store_2addr_b64 v31, v[17:18], v[8:9] offset1:22
	ds_store_b64 v31, v[39:40] offset:352
	v_lshlrev_b32_e32 v0, 5, v26
	global_wb scope:SCOPE_SE
	s_wait_dscnt 0x0
	s_barrier_signal -1
	s_barrier_wait -1
	global_inv scope:SCOPE_SE
	s_clause 0x3
	global_load_b128 v[20:23], v[73:74], off offset:440
	global_load_b128 v[16:19], v[73:74], off offset:456
	global_load_b128 v[12:15], v0, s[8:9] offset:440
	global_load_b128 v[8:11], v0, s[8:9] offset:456
	v_sub_nc_u16 v1, v38, v82
	v_lshlrev_b32_e32 v28, 2, v46
	s_wait_alu 0xf1ff
	v_cndmask_b32_e64 v43, 0, 0xa50, s0
	v_add_nc_u32_e32 v40, 0x1c00, v50
	v_mul_u32_u24_e32 v47, 0xa50, v27
	v_and_b32_e32 v31, 0xffff, v1
	v_lshlrev_b64_e32 v[67:68], 3, v[28:29]
	v_mul_u32_u24_e32 v69, 0xa50, v24
	v_add_nc_u32_e32 v42, 0x2c00, v50
	v_lshlrev_b32_e32 v28, 2, v30
	v_lshlrev_b32_e32 v0, 5, v31
	s_clause 0x1
	global_load_b128 v[4:7], v0, s[8:9] offset:440
	global_load_b128 v[0:3], v0, s[8:9] offset:456
	v_add_nc_u32_e32 v39, 0x1000, v50
	v_lshlrev_b32_e32 v25, 3, v25
	v_add_nc_u32_e32 v41, 0x2400, v50
	v_add_co_u32 v77, s0, s8, v67
	ds_load_2addr_b64 v[51:54], v39 offset0:38 offset1:148
	v_add3_u32 v43, 0, v43, v25
	ds_load_2addr_b64 v[24:27], v35 offset0:92 offset1:202
	ds_load_2addr_b64 v[55:58], v40 offset0:94 offset1:204
	ds_load_2addr_b64 v[59:62], v41 offset0:58 offset1:168
	ds_load_2addr_b32 v[75:76], v33 offset0:112 offset1:113
	ds_load_2addr_b64 v[63:66], v34 offset0:2 offset1:112
	v_lshlrev_b32_e32 v71, 3, v31
	v_lshlrev_b64_e32 v[30:31], 3, v[28:29]
	v_lshlrev_b32_e32 v28, 2, v38
	s_wait_alu 0xf1ff
	v_add_co_ci_u32_e64 v78, s0, s9, v68, s0
	v_add3_u32 v38, 0, v69, v70
	v_add3_u32 v47, 0, v47, v71
	ds_load_2addr_b64 v[67:70], v42 offset0:22 offset1:132
	ds_load_2addr_b64 v[71:74], v50 offset1:110
	global_wb scope:SCOPE_SE
	s_wait_loadcnt_dscnt 0x0
	s_barrier_signal -1
	s_barrier_wait -1
	global_inv scope:SCOPE_SE
	v_mul_f32_e32 v80, v23, v54
	v_mul_f32_e32 v23, v23, v53
	;; [unrolled: 1-line block ×8, first 2 shown]
	v_fmac_f32_e32 v23, v22, v54
	v_dual_mul_f32 v9, v68, v11 :: v_dual_fmac_f32 v86, v58, v8
	v_fma_f32 v11, v20, v26, -v79
	v_mul_f32_e32 v81, v17, v56
	v_fmac_f32_e32 v21, v20, v27
	v_fma_f32 v20, v22, v53, -v80
	v_fma_f32 v53, v18, v61, -v82
	v_mul_f32_e32 v17, v17, v55
	v_fma_f32 v27, v16, v55, -v81
	v_mul_f32_e32 v83, v19, v61
	v_fmac_f32_e32 v87, v68, v10
	v_mul_f32_e32 v84, v64, v15
	v_mul_f32_e32 v26, v66, v7
	;; [unrolled: 1-line block ×3, first 2 shown]
	v_fmac_f32_e32 v83, v18, v62
	v_mul_f32_e32 v19, v76, v13
	v_mul_f32_e32 v13, v13, v75
	v_fmac_f32_e32 v17, v16, v56
	v_mul_f32_e32 v16, v60, v1
	v_dual_mul_f32 v18, v59, v1 :: v_dual_mul_f32 v1, v70, v3
	v_mul_f32_e32 v54, v69, v3
	v_fma_f32 v3, v12, v75, -v19
	v_dual_fmac_f32 v7, v66, v6 :: v_dual_sub_f32 v58, v20, v27
	v_mul_f32_e32 v22, v52, v5
	v_fmac_f32_e32 v18, v60, v0
	s_delay_alu instid0(VALU_DEP_4)
	v_add_f32_e32 v62, v73, v3
	v_add_f32_e32 v56, v23, v17
	v_fma_f32 v55, v67, v10, -v9
	v_fma_f32 v9, v65, v6, -v26
	v_dual_add_f32 v6, v11, v53 :: v_dual_fmac_f32 v13, v76, v12
	v_fma_f32 v12, v63, v14, -v84
	s_delay_alu instid0(VALU_DEP_4)
	v_add_f32_e32 v68, v3, v55
	v_sub_f32_e32 v10, v20, v11
	v_fma_f32 v16, v59, v0, -v16
	v_fmac_f32_e32 v54, v70, v2
	v_sub_f32_e32 v66, v3, v12
	v_mul_f32_e32 v15, v63, v15
	v_dual_mul_f32 v5, v51, v5 :: v_dual_add_f32 v60, v21, v83
	v_add_f32_e32 v0, v71, v11
	v_sub_f32_e32 v79, v3, v55
	s_delay_alu instid0(VALU_DEP_3)
	v_fmac_f32_e32 v5, v52, v4
	v_add_f32_e32 v52, v72, v21
	v_fmac_f32_e32 v15, v64, v14
	v_fma_f32 v14, v57, v8, -v85
	v_fma_f32 v8, v51, v4, -v22
	v_dual_sub_f32 v51, v23, v17 :: v_dual_sub_f32 v4, v53, v27
	s_delay_alu instid0(VALU_DEP_3) | instskip(NEXT) | instid1(VALU_DEP_3)
	v_sub_f32_e32 v70, v14, v55
	v_sub_f32_e32 v96, v9, v8
	;; [unrolled: 1-line block ×3, first 2 shown]
	v_fma_f32 v26, v69, v2, -v1
	v_add_f32_e32 v84, v13, v87
	v_dual_add_f32 v1, v20, v27 :: v_dual_sub_f32 v90, v5, v54
	v_sub_f32_e32 v2, v11, v20
	s_delay_alu instid0(VALU_DEP_4)
	v_dual_sub_f32 v19, v27, v53 :: v_dual_add_f32 v94, v8, v26
	v_sub_f32_e32 v57, v11, v53
	v_dual_sub_f32 v11, v21, v23 :: v_dual_sub_f32 v92, v8, v9
	v_sub_f32_e32 v64, v13, v87
	v_dual_sub_f32 v22, v21, v83 :: v_dual_sub_f32 v59, v83, v17
	v_sub_f32_e32 v21, v23, v21
	v_dual_sub_f32 v61, v17, v83 :: v_dual_add_f32 v20, v0, v20
	v_fma_f32 v0, -0.5, v1, v71
	v_fma_f32 v1, -0.5, v56, v72
	v_sub_f32_e32 v56, v8, v26
	v_add_f32_e32 v63, v12, v14
	v_sub_f32_e32 v69, v12, v3
	v_sub_f32_e32 v80, v12, v14
	v_add_f32_e32 v88, v24, v8
	v_add_f32_e32 v89, v9, v16
	v_sub_f32_e32 v93, v26, v16
	v_add_f32_e32 v95, v2, v4
	v_dual_add_f32 v97, v10, v19 :: v_dual_sub_f32 v10, v16, v26
	v_add_f32_e32 v19, v52, v23
	v_add_f32_e32 v52, v11, v59
	v_fma_f32 v2, -0.5, v6, v71
	v_sub_f32_e32 v8, v5, v7
	v_dual_add_f32 v12, v62, v12 :: v_dual_add_f32 v59, v21, v61
	v_fma_f32 v4, -0.5, v63, v73
	v_fma_f32 v73, -0.5, v68, v73
	v_sub_f32_e32 v21, v54, v18
	v_sub_f32_e32 v67, v55, v14
	v_dual_add_f32 v76, v15, v86 :: v_dual_sub_f32 v85, v86, v87
	v_sub_f32_e32 v91, v7, v18
	v_fma_f32 v3, -0.5, v60, v72
	v_add_f32_e32 v62, v5, v54
	v_add_f32_e32 v72, v8, v21
	v_fmamk_f32 v8, v22, 0x3f737871, v0
	v_fma_f32 v6, -0.5, v89, v24
	v_fma_f32 v24, -0.5, v94, v24
	v_dual_fmac_f32 v0, 0xbf737871, v22 :: v_dual_sub_f32 v81, v13, v15
	v_dual_add_f32 v71, v96, v10 :: v_dual_fmamk_f32 v10, v51, 0xbf737871, v2
	v_fmac_f32_e32 v2, 0x3f737871, v51
	s_delay_alu instid0(VALU_DEP_3)
	v_dual_fmac_f32 v0, 0xbf167918, v51 :: v_dual_add_f32 v63, v69, v70
	v_add_f32_e32 v70, v92, v93
	v_dual_add_f32 v75, v74, v13 :: v_dual_add_f32 v68, v81, v82
	v_dual_sub_f32 v13, v15, v13 :: v_dual_add_f32 v20, v20, v27
	v_add_f32_e32 v23, v25, v5
	v_sub_f32_e32 v61, v7, v5
	v_fma_f32 v5, -0.5, v76, v74
	v_dual_fmac_f32 v74, -0.5, v84 :: v_dual_sub_f32 v65, v15, v86
	v_add_f32_e32 v60, v66, v67
	v_dual_sub_f32 v66, v18, v54 :: v_dual_add_f32 v69, v13, v85
	v_dual_fmac_f32 v8, 0x3f167918, v51 :: v_dual_add_f32 v13, v88, v9
	v_fmac_f32_e32 v10, 0x3f167918, v22
	v_add_f32_e32 v11, v7, v18
	v_add_f32_e32 v27, v12, v14
	v_fmamk_f32 v12, v64, 0x3f737871, v4
	v_dual_fmac_f32 v4, 0xbf737871, v64 :: v_dual_add_f32 v15, v75, v15
	v_sub_f32_e32 v67, v9, v16
	v_dual_add_f32 v23, v23, v7 :: v_dual_add_f32 v20, v20, v53
	s_delay_alu instid0(VALU_DEP_4)
	v_dual_add_f32 v61, v61, v66 :: v_dual_fmac_f32 v12, 0x3f167918, v65
	v_add_f32_e32 v66, v13, v16
	v_fma_f32 v7, -0.5, v11, v25
	v_fmamk_f32 v9, v57, 0xbf737871, v1
	v_dual_fmac_f32 v4, 0xbf167918, v65 :: v_dual_fmac_f32 v25, -0.5, v62
	v_fmamk_f32 v11, v58, 0x3f737871, v3
	v_fmac_f32_e32 v3, 0xbf737871, v58
	v_fmac_f32_e32 v1, 0x3f737871, v57
	v_fmamk_f32 v14, v65, 0xbf737871, v73
	v_fmamk_f32 v13, v79, 0xbf737871, v5
	v_dual_fmac_f32 v73, 0x3f737871, v65 :: v_dual_fmamk_f32 v16, v90, 0x3f737871, v6
	v_fmac_f32_e32 v6, 0xbf737871, v90
	v_dual_add_f32 v62, v15, v86 :: v_dual_fmamk_f32 v15, v80, 0x3f737871, v74
	v_dual_fmac_f32 v74, 0xbf737871, v80 :: v_dual_add_f32 v21, v19, v17
	v_fmac_f32_e32 v2, 0xbf167918, v22
	v_fmac_f32_e32 v5, 0x3f737871, v79
	v_dual_add_f32 v75, v23, v18 :: v_dual_fmac_f32 v14, 0x3f167918, v64
	v_fmamk_f32 v18, v91, 0xbf737871, v24
	v_fmac_f32_e32 v24, 0x3f737871, v91
	v_fmamk_f32 v17, v56, 0xbf737871, v7
	v_dual_fmac_f32 v7, 0x3f737871, v56 :: v_dual_add_f32 v22, v27, v55
	v_fmamk_f32 v19, v67, 0x3f737871, v25
	v_dual_fmac_f32 v25, 0xbf737871, v67 :: v_dual_add_f32 v26, v66, v26
	v_dual_fmac_f32 v9, 0xbf167918, v58 :: v_dual_fmac_f32 v6, 0xbf167918, v91
	v_dual_fmac_f32 v11, 0xbf167918, v57 :: v_dual_fmac_f32 v24, 0xbf167918, v90
	v_dual_fmac_f32 v3, 0x3f167918, v57 :: v_dual_fmac_f32 v16, 0x3f167918, v91
	v_dual_fmac_f32 v1, 0x3f167918, v58 :: v_dual_fmac_f32 v74, 0x3f167918, v79
	v_fmac_f32_e32 v13, 0xbf167918, v80
	v_fmac_f32_e32 v73, 0xbf167918, v64
	;; [unrolled: 1-line block ×3, first 2 shown]
	v_dual_add_f32 v21, v21, v83 :: v_dual_fmac_f32 v18, 0x3f167918, v90
	v_fmac_f32_e32 v5, 0x3f167918, v80
	v_dual_add_f32 v27, v75, v54 :: v_dual_fmac_f32 v8, 0x3e9e377a, v95
	v_fmac_f32_e32 v17, 0xbf167918, v67
	v_fmac_f32_e32 v7, 0x3f167918, v67
	;; [unrolled: 1-line block ×4, first 2 shown]
	v_dual_fmac_f32 v0, 0x3e9e377a, v95 :: v_dual_fmac_f32 v9, 0x3e9e377a, v52
	v_dual_add_f32 v23, v62, v87 :: v_dual_fmac_f32 v10, 0x3e9e377a, v97
	v_dual_fmac_f32 v2, 0x3e9e377a, v97 :: v_dual_fmac_f32 v1, 0x3e9e377a, v52
	v_dual_fmac_f32 v11, 0x3e9e377a, v59 :: v_dual_fmac_f32 v12, 0x3e9e377a, v60
	;; [unrolled: 1-line block ×9, first 2 shown]
	v_fmac_f32_e32 v19, 0x3e9e377a, v61
	v_fmac_f32_e32 v25, 0x3e9e377a, v61
	ds_store_2addr_b64 v43, v[20:21], v[8:9] offset1:66
	ds_store_2addr_b64 v43, v[10:11], v[2:3] offset0:132 offset1:198
	ds_store_b64 v43, v[0:1] offset:2112
	ds_store_2addr_b64 v38, v[22:23], v[12:13] offset1:66
	ds_store_2addr_b64 v38, v[14:15], v[73:74] offset0:132 offset1:198
	ds_store_b64 v38, v[4:5] offset:2112
	;; [unrolled: 3-line block ×3, first 2 shown]
	v_lshlrev_b64_e32 v[2:3], 3, v[28:29]
	v_add_co_u32 v0, s0, s8, v30
	s_wait_alu 0xf1ff
	v_add_co_ci_u32_e64 v1, s0, s9, v31, s0
	global_wb scope:SCOPE_SE
	s_wait_dscnt 0x0
	v_add_co_u32 v2, s0, s8, v2
	s_wait_alu 0xf1ff
	v_add_co_ci_u32_e64 v3, s0, s9, v3, s0
	s_barrier_signal -1
	s_barrier_wait -1
	global_inv scope:SCOPE_SE
	s_clause 0x5
	global_load_b128 v[8:11], v[77:78], off offset:2552
	global_load_b128 v[12:15], v[77:78], off offset:2568
	;; [unrolled: 1-line block ×6, first 2 shown]
	ds_load_2addr_b64 v[0:3], v35 offset0:92 offset1:202
	ds_load_2addr_b64 v[55:58], v39 offset0:38 offset1:148
	;; [unrolled: 1-line block ×4, first 2 shown]
	ds_load_2addr_b32 v[30:31], v33 offset0:112 offset1:113
	ds_load_2addr_b64 v[63:66], v34 offset0:2 offset1:112
	ds_load_2addr_b64 v[67:70], v42 offset0:22 offset1:132
	ds_load_2addr_b64 v[4:7], v50 offset1:110
	global_wb scope:SCOPE_SE
	s_wait_loadcnt_dscnt 0x0
	s_barrier_signal -1
	s_barrier_wait -1
	global_inv scope:SCOPE_SE
	v_mul_f32_e32 v28, v9, v3
	v_dual_mul_f32 v76, v66, v27 :: v_dual_mul_f32 v77, v39, v52
	v_mul_f32_e32 v52, v38, v52
	v_mul_f32_e32 v78, v70, v54
	;; [unrolled: 1-line block ×5, first 2 shown]
	v_fmac_f32_e32 v52, v39, v51
	v_mul_f32_e32 v72, v64, v19
	v_dual_fmac_f32 v54, v70, v53 :: v_dual_mul_f32 v27, v65, v27
	v_mul_f32_e32 v19, v63, v19
	v_mul_f32_e32 v42, v11, v58
	s_delay_alu instid0(VALU_DEP_3) | instskip(NEXT) | instid1(VALU_DEP_4)
	v_sub_f32_e32 v92, v52, v54
	v_fmac_f32_e32 v27, v66, v26
	v_mul_f32_e32 v23, v56, v25
	v_dual_mul_f32 v25, v55, v25 :: v_dual_sub_f32 v90, v54, v52
	s_delay_alu instid0(VALU_DEP_3) | instskip(SKIP_1) | instid1(VALU_DEP_3)
	v_dual_mul_f32 v73, v62, v21 :: v_dual_sub_f32 v80, v27, v52
	v_mul_f32_e32 v21, v61, v21
	v_fmac_f32_e32 v25, v56, v24
	v_fmac_f32_e32 v19, v64, v18
	v_mul_f32_e32 v47, v15, v41
	s_delay_alu instid0(VALU_DEP_4)
	v_fmac_f32_e32 v21, v62, v20
	v_mul_f32_e32 v9, v9, v2
	v_dual_add_f32 v86, v1, v25 :: v_dual_fmac_f32 v75, v68, v22
	v_mul_f32_e32 v71, v15, v40
	v_mul_f32_e32 v15, v31, v17
	;; [unrolled: 1-line block ×3, first 2 shown]
	v_fma_f32 v2, v8, v2, -v28
	v_dual_add_f32 v68, v19, v21 :: v_dual_fmac_f32 v9, v8, v3
	s_delay_alu instid0(VALU_DEP_4) | instskip(NEXT) | instid1(VALU_DEP_4)
	v_fma_f32 v8, v16, v30, -v15
	v_fmac_f32_e32 v17, v31, v16
	v_fma_f32 v16, v61, v20, -v73
	v_fma_f32 v30, v67, v22, -v74
	v_mul_f32_e32 v11, v11, v57
	v_fma_f32 v31, v69, v53, -v78
	v_mul_f32_e32 v43, v13, v60
	v_fma_f32 v3, v10, v57, -v42
	v_sub_f32_e32 v66, v16, v30
	v_fmac_f32_e32 v11, v10, v58
	v_fma_f32 v10, v63, v18, -v72
	v_mul_f32_e32 v13, v13, v59
	v_fma_f32 v28, v12, v59, -v43
	v_sub_f32_e32 v72, v17, v19
	v_fma_f32 v40, v14, v40, -v47
	v_sub_f32_e32 v70, v10, v16
	v_fmac_f32_e32 v13, v12, v60
	v_fma_f32 v12, v55, v24, -v23
	v_add_f32_e32 v18, v3, v28
	v_add_f32_e32 v24, v2, v40
	;; [unrolled: 1-line block ×3, first 2 shown]
	v_dual_add_f32 v59, v10, v16 :: v_dual_add_f32 v64, v8, v30
	v_dual_add_f32 v15, v4, v2 :: v_dual_sub_f32 v22, v2, v3
	v_sub_f32_e32 v60, v17, v75
	v_dual_sub_f32 v62, v8, v10 :: v_dual_add_f32 v67, v7, v17
	v_dual_sub_f32 v69, v8, v30 :: v_dual_add_f32 v74, v17, v75
	v_sub_f32_e32 v17, v19, v17
	v_fmac_f32_e32 v71, v14, v41
	v_fma_f32 v14, v65, v26, -v76
	v_sub_f32_e32 v65, v10, v8
	v_fma_f32 v8, -0.5, v59, v6
	v_sub_f32_e32 v39, v3, v2
	v_fma_f32 v6, -0.5, v64, v6
	;; [unrolled: 2-line block ×3, first 2 shown]
	v_fma_f32 v4, -0.5, v24, v4
	v_dual_sub_f32 v23, v40, v28 :: v_dual_add_f32 v18, v58, v10
	v_add_f32_e32 v42, v5, v9
	v_sub_f32_e32 v26, v9, v71
	v_add_f32_e32 v56, v9, v71
	s_delay_alu instid0(VALU_DEP_4)
	v_add_f32_e32 v93, v22, v23
	v_add_f32_e32 v24, v86, v27
	;; [unrolled: 1-line block ×3, first 2 shown]
	v_fma_f32 v20, v38, v51, -v77
	v_add_f32_e32 v77, v0, v12
	v_dual_sub_f32 v81, v12, v14 :: v_dual_sub_f32 v84, v14, v12
	v_sub_f32_e32 v88, v12, v31
	s_delay_alu instid0(VALU_DEP_3) | instskip(SKIP_3) | instid1(VALU_DEP_4)
	v_dual_add_f32 v78, v14, v20 :: v_dual_add_f32 v23, v77, v14
	v_sub_f32_e32 v53, v9, v11
	v_sub_f32_e32 v9, v11, v9
	;; [unrolled: 1-line block ×3, first 2 shown]
	v_fma_f32 v10, -0.5, v78, v0
	v_dual_sub_f32 v57, v13, v71 :: v_dual_sub_f32 v82, v31, v20
	v_dual_sub_f32 v85, v20, v31 :: v_dual_add_f32 v64, v23, v20
	s_delay_alu instid0(VALU_DEP_2) | instskip(SKIP_2) | instid1(VALU_DEP_2)
	v_add_f32_e32 v42, v9, v57
	v_sub_f32_e32 v38, v11, v13
	v_fma_f32 v9, -0.5, v68, v7
	v_dual_fmac_f32 v7, -0.5, v74 :: v_dual_fmamk_f32 v14, v38, 0xbf737871, v4
	v_sub_f32_e32 v79, v25, v54
	v_add_f32_e32 v43, v11, v13
	v_add_f32_e32 v91, v25, v54
	v_fmac_f32_e32 v4, 0x3f737871, v38
	v_fmac_f32_e32 v14, 0x3f167918, v26
	v_fmamk_f32 v20, v79, 0x3f737871, v10
	v_fmac_f32_e32 v10, 0xbf737871, v79
	v_add_f32_e32 v83, v12, v31
	v_dual_sub_f32 v12, v25, v27 :: v_dual_sub_f32 v25, v27, v25
	s_delay_alu instid0(VALU_DEP_4) | instskip(NEXT) | instid1(VALU_DEP_2)
	v_dual_fmac_f32 v20, 0x3f167918, v80 :: v_dual_add_f32 v57, v81, v82
	v_dual_fmac_f32 v10, 0xbf167918, v80 :: v_dual_add_f32 v59, v12, v90
	v_fmamk_f32 v12, v26, 0x3f737871, v2
	v_dual_fmac_f32 v2, 0xbf737871, v26 :: v_dual_sub_f32 v63, v30, v16
	v_fma_f32 v0, -0.5, v83, v0
	v_dual_sub_f32 v51, v3, v28 :: v_dual_sub_f32 v76, v21, v75
	s_delay_alu instid0(VALU_DEP_3) | instskip(SKIP_3) | instid1(VALU_DEP_4)
	v_dual_fmac_f32 v2, 0xbf167918, v38 :: v_dual_add_f32 v15, v15, v3
	v_fma_f32 v3, -0.5, v43, v5
	v_dual_add_f32 v43, v62, v63 :: v_dual_fmac_f32 v20, 0x3e9e377a, v57
	v_add_f32_e32 v62, v25, v92
	v_dual_fmac_f32 v2, 0x3e9e377a, v93 :: v_dual_add_f32 v25, v15, v28
	v_sub_f32_e32 v61, v19, v21
	v_sub_f32_e32 v41, v28, v40
	v_add_f32_e32 v28, v18, v16
	v_dual_fmamk_f32 v16, v60, 0x3f737871, v8 :: v_dual_add_f32 v87, v27, v52
	v_add_f32_e32 v52, v24, v52
	v_add_f32_e32 v24, v25, v40
	v_fmamk_f32 v18, v61, 0xbf737871, v6
	v_fma_f32 v5, -0.5, v56, v5
	v_fmac_f32_e32 v6, 0x3f737871, v61
	v_fmac_f32_e32 v16, 0x3f167918, v61
	s_delay_alu instid0(VALU_DEP_4) | instskip(SKIP_2) | instid1(VALU_DEP_4)
	v_dual_add_f32 v27, v22, v13 :: v_dual_fmac_f32 v18, 0x3f167918, v60
	v_dual_add_f32 v56, v17, v76 :: v_dual_sub_f32 v55, v71, v13
	v_dual_fmac_f32 v8, 0xbf737871, v60 :: v_dual_add_f32 v39, v39, v41
	v_fmac_f32_e32 v16, 0x3e9e377a, v43
	v_fmamk_f32 v22, v80, 0xbf737871, v0
	v_fmac_f32_e32 v0, 0x3f737871, v80
	v_fmac_f32_e32 v12, 0x3f167918, v38
	;; [unrolled: 1-line block ×3, first 2 shown]
	v_dual_fmac_f32 v6, 0xbf167918, v60 :: v_dual_add_f32 v41, v53, v55
	v_add_f32_e32 v53, v65, v66
	v_dual_add_f32 v19, v67, v19 :: v_dual_fmac_f32 v10, 0x3e9e377a, v57
	v_dual_sub_f32 v73, v75, v21 :: v_dual_add_f32 v26, v28, v30
	v_add_f32_e32 v30, v64, v31
	v_fma_f32 v11, -0.5, v87, v1
	v_fmac_f32_e32 v22, 0x3f167918, v79
	v_fmac_f32_e32 v0, 0xbf167918, v79
	;; [unrolled: 1-line block ×5, first 2 shown]
	v_dual_add_f32 v58, v84, v85 :: v_dual_fmac_f32 v1, -0.5, v91
	v_fmamk_f32 v15, v51, 0x3f737871, v5
	v_add_f32_e32 v63, v19, v21
	v_fmamk_f32 v19, v70, 0x3f737871, v7
	s_delay_alu instid0(VALU_DEP_4)
	v_fmac_f32_e32 v22, 0x3e9e377a, v58
	v_fmamk_f32 v13, v47, 0xbf737871, v3
	v_fmac_f32_e32 v3, 0x3f737871, v47
	v_fmamk_f32 v17, v69, 0xbf737871, v9
	;; [unrolled: 2-line block ×3, first 2 shown]
	v_fmac_f32_e32 v5, 0xbf737871, v51
	v_fmac_f32_e32 v7, 0xbf737871, v70
	;; [unrolled: 1-line block ×3, first 2 shown]
	v_fmamk_f32 v23, v89, 0x3f737871, v1
	v_fmac_f32_e32 v1, 0xbf737871, v89
	v_fmac_f32_e32 v15, 0xbf167918, v47
	;; [unrolled: 1-line block ×5, first 2 shown]
	v_add_f32_e32 v55, v72, v73
	v_fmac_f32_e32 v9, 0x3f167918, v70
	v_fmac_f32_e32 v13, 0xbf167918, v51
	;; [unrolled: 1-line block ×5, first 2 shown]
	v_add_f32_e32 v25, v27, v71
	v_fmac_f32_e32 v5, 0x3f167918, v47
	v_add_f32_e32 v27, v63, v75
	v_fmac_f32_e32 v7, 0x3f167918, v69
	v_fmac_f32_e32 v11, 0x3f167918, v89
	v_fmac_f32_e32 v23, 0xbf167918, v88
	v_fmac_f32_e32 v1, 0x3f167918, v88
	v_dual_fmac_f32 v14, 0x3e9e377a, v39 :: v_dual_fmac_f32 v15, 0x3e9e377a, v42
	v_dual_fmac_f32 v19, 0x3e9e377a, v56 :: v_dual_fmac_f32 v6, 0x3e9e377a, v53
	v_fmac_f32_e32 v3, 0x3e9e377a, v41
	v_fmac_f32_e32 v9, 0x3e9e377a, v55
	v_add_f32_e32 v31, v52, v54
	v_fmac_f32_e32 v13, 0x3e9e377a, v41
	v_fmac_f32_e32 v17, 0x3e9e377a, v55
	;; [unrolled: 1-line block ×4, first 2 shown]
	v_dual_fmac_f32 v7, 0x3e9e377a, v56 :: v_dual_fmac_f32 v0, 0x3e9e377a, v58
	v_fmac_f32_e32 v11, 0x3e9e377a, v59
	v_fmac_f32_e32 v23, 0x3e9e377a, v62
	;; [unrolled: 1-line block ×3, first 2 shown]
	ds_store_2addr_b64 v50, v[24:25], v[26:27] offset1:110
	ds_store_2addr_b64 v37, v[14:15], v[18:19] offset0:20 offset1:130
	ds_store_2addr_b64 v36, v[2:3], v[8:9] offset0:40 offset1:150
	;; [unrolled: 1-line block ×6, first 2 shown]
	ds_store_b64 v50, v[10:11] offset:12320
	global_wb scope:SCOPE_SE
	s_wait_dscnt 0x0
	s_barrier_signal -1
	s_barrier_wait -1
	global_inv scope:SCOPE_SE
	s_and_saveexec_b32 s0, vcc_lo
	s_cbranch_execz .LBB0_29
; %bb.28:
	v_mul_lo_u32 v0, s3, v48
	v_mul_lo_u32 v1, s2, v49
	v_mad_co_u64_u32 v[4:5], null, s2, v48, 0
	v_lshl_add_u32 v24, v46, 3, 0
	v_dual_mov_b32 v47, v29 :: v_dual_add_nc_u32 v28, 0x6e, v46
	v_lshlrev_b64_e32 v[8:9], 3, v[44:45]
	s_delay_alu instid0(VALU_DEP_3) | instskip(SKIP_1) | instid1(VALU_DEP_4)
	v_add_nc_u32_e32 v6, 0x400, v24
	v_add3_u32 v5, v5, v1, v0
	v_lshlrev_b64_e32 v[12:13], 3, v[46:47]
	ds_load_2addr_b64 v[0:3], v24 offset1:110
	v_lshlrev_b64_e32 v[14:15], 3, v[28:29]
	v_add_nc_u32_e32 v28, 0xdc, v46
	v_lshlrev_b64_e32 v[10:11], 3, v[4:5]
	ds_load_2addr_b64 v[4:7], v6 offset0:92 offset1:202
	v_add_nc_u32_e32 v18, 0xc00, v24
	v_add_co_u32 v16, vcc_lo, s6, v10
	s_wait_alu 0xfffd
	v_add_co_ci_u32_e32 v17, vcc_lo, s7, v11, vcc_lo
	v_lshlrev_b64_e32 v[10:11], 3, v[28:29]
	s_delay_alu instid0(VALU_DEP_3) | instskip(SKIP_1) | instid1(VALU_DEP_3)
	v_add_co_u32 v30, vcc_lo, v16, v8
	s_wait_alu 0xfffd
	v_add_co_ci_u32_e32 v31, vcc_lo, v17, v9, vcc_lo
	v_add_nc_u32_e32 v28, 0x14a, v46
	s_delay_alu instid0(VALU_DEP_3) | instskip(SKIP_1) | instid1(VALU_DEP_3)
	v_add_co_u32 v8, vcc_lo, v30, v12
	s_wait_alu 0xfffd
	v_add_co_ci_u32_e32 v9, vcc_lo, v31, v13, vcc_lo
	v_add_co_u32 v12, vcc_lo, v30, v14
	s_wait_alu 0xfffd
	v_add_co_ci_u32_e32 v13, vcc_lo, v31, v15, vcc_lo
	v_lshlrev_b64_e32 v[14:15], 3, v[28:29]
	v_add_co_u32 v10, vcc_lo, v30, v10
	v_add_nc_u32_e32 v28, 0x1b8, v46
	s_wait_alu 0xfffd
	v_add_co_ci_u32_e32 v11, vcc_lo, v31, v11, vcc_lo
	s_delay_alu instid0(VALU_DEP_4)
	v_add_co_u32 v14, vcc_lo, v30, v14
	s_wait_alu 0xfffd
	v_add_co_ci_u32_e32 v15, vcc_lo, v31, v15, vcc_lo
	v_lshlrev_b64_e32 v[16:17], 3, v[28:29]
	v_add_nc_u32_e32 v28, 0x226, v46
	s_wait_dscnt 0x1
	s_clause 0x1
	global_store_b64 v[8:9], v[0:1], off
	global_store_b64 v[12:13], v[2:3], off
	s_wait_dscnt 0x0
	s_clause 0x1
	global_store_b64 v[10:11], v[4:5], off
	global_store_b64 v[14:15], v[6:7], off
	v_add_nc_u32_e32 v4, 0x1400, v24
	ds_load_2addr_b64 v[0:3], v18 offset0:56 offset1:166
	v_add_nc_u32_e32 v18, 0x1800, v24
	v_lshlrev_b64_e32 v[8:9], 3, v[28:29]
	v_add_nc_u32_e32 v28, 0x294, v46
	ds_load_2addr_b64 v[4:7], v4 offset0:20 offset1:130
	v_add_co_u32 v10, vcc_lo, v30, v16
	s_wait_alu 0xfffd
	v_add_co_ci_u32_e32 v11, vcc_lo, v31, v17, vcc_lo
	v_lshlrev_b64_e32 v[12:13], 3, v[28:29]
	v_add_nc_u32_e32 v28, 0x302, v46
	v_add_co_u32 v8, vcc_lo, v30, v8
	s_wait_alu 0xfffd
	v_add_co_ci_u32_e32 v9, vcc_lo, v31, v9, vcc_lo
	s_delay_alu instid0(VALU_DEP_3) | instskip(SKIP_4) | instid1(VALU_DEP_3)
	v_lshlrev_b64_e32 v[14:15], 3, v[28:29]
	v_add_nc_u32_e32 v28, 0x370, v46
	v_add_co_u32 v12, vcc_lo, v30, v12
	s_wait_alu 0xfffd
	v_add_co_ci_u32_e32 v13, vcc_lo, v31, v13, vcc_lo
	v_lshlrev_b64_e32 v[16:17], 3, v[28:29]
	v_add_nc_u32_e32 v28, 0x3de, v46
	v_add_co_u32 v14, vcc_lo, v30, v14
	s_wait_alu 0xfffd
	v_add_co_ci_u32_e32 v15, vcc_lo, v31, v15, vcc_lo
	s_wait_dscnt 0x1
	s_clause 0x1
	global_store_b64 v[10:11], v[0:1], off
	global_store_b64 v[8:9], v[2:3], off
	s_wait_dscnt 0x0
	s_clause 0x1
	global_store_b64 v[12:13], v[4:5], off
	global_store_b64 v[14:15], v[6:7], off
	v_lshlrev_b64_e32 v[4:5], 3, v[28:29]
	v_add_nc_u32_e32 v28, 0x44c, v46
	v_add_co_u32 v12, vcc_lo, v30, v16
	s_wait_alu 0xfffd
	v_add_co_ci_u32_e32 v13, vcc_lo, v31, v17, vcc_lo
	s_delay_alu instid0(VALU_DEP_3)
	v_lshlrev_b64_e32 v[8:9], 3, v[28:29]
	v_add_nc_u32_e32 v28, 0x4ba, v46
	v_add_co_u32 v14, vcc_lo, v30, v4
	v_add_nc_u32_e32 v6, 0x2000, v24
	s_wait_alu 0xfffd
	v_add_co_ci_u32_e32 v15, vcc_lo, v31, v5, vcc_lo
	v_lshlrev_b64_e32 v[10:11], 3, v[28:29]
	v_add_nc_u32_e32 v28, 0x528, v46
	v_add_co_u32 v16, vcc_lo, v30, v8
	v_add_nc_u32_e32 v8, 0x2800, v24
	ds_load_2addr_b64 v[0:3], v18 offset0:112 offset1:222
	s_wait_alu 0xfffd
	v_add_co_ci_u32_e32 v17, vcc_lo, v31, v9, vcc_lo
	ds_load_2addr_b64 v[4:7], v6 offset0:76 offset1:186
	v_lshlrev_b64_e32 v[18:19], 3, v[28:29]
	v_add_nc_u32_e32 v28, 0x596, v46
	v_add_co_u32 v20, vcc_lo, v30, v10
	s_wait_alu 0xfffd
	v_add_co_ci_u32_e32 v21, vcc_lo, v31, v11, vcc_lo
	ds_load_2addr_b64 v[8:11], v8 offset0:40 offset1:150
	ds_load_b64 v[24:25], v24 offset:12320
	v_lshlrev_b64_e32 v[22:23], 3, v[28:29]
	v_add_nc_u32_e32 v28, 0x604, v46
	v_add_co_u32 v18, vcc_lo, v30, v18
	s_wait_alu 0xfffd
	v_add_co_ci_u32_e32 v19, vcc_lo, v31, v19, vcc_lo
	s_delay_alu instid0(VALU_DEP_3) | instskip(SKIP_3) | instid1(VALU_DEP_3)
	v_lshlrev_b64_e32 v[26:27], 3, v[28:29]
	v_add_co_u32 v22, vcc_lo, v30, v22
	s_wait_alu 0xfffd
	v_add_co_ci_u32_e32 v23, vcc_lo, v31, v23, vcc_lo
	v_add_co_u32 v26, vcc_lo, v30, v26
	s_wait_alu 0xfffd
	v_add_co_ci_u32_e32 v27, vcc_lo, v31, v27, vcc_lo
	s_wait_dscnt 0x3
	s_clause 0x1
	global_store_b64 v[12:13], v[0:1], off
	global_store_b64 v[14:15], v[2:3], off
	s_wait_dscnt 0x2
	s_clause 0x1
	global_store_b64 v[16:17], v[4:5], off
	global_store_b64 v[20:21], v[6:7], off
	;; [unrolled: 4-line block ×3, first 2 shown]
	s_wait_dscnt 0x0
	global_store_b64 v[26:27], v[24:25], off
.LBB0_29:
	s_nop 0
	s_sendmsg sendmsg(MSG_DEALLOC_VGPRS)
	s_endpgm
	.section	.rodata,"a",@progbits
	.p2align	6, 0x0
	.amdhsa_kernel fft_rtc_fwd_len1650_factors_11_2_3_5_5_wgs_110_tpt_110_halfLds_sp_op_CI_CI_unitstride_sbrr_C2R_dirReg
		.amdhsa_group_segment_fixed_size 0
		.amdhsa_private_segment_fixed_size 0
		.amdhsa_kernarg_size 104
		.amdhsa_user_sgpr_count 2
		.amdhsa_user_sgpr_dispatch_ptr 0
		.amdhsa_user_sgpr_queue_ptr 0
		.amdhsa_user_sgpr_kernarg_segment_ptr 1
		.amdhsa_user_sgpr_dispatch_id 0
		.amdhsa_user_sgpr_private_segment_size 0
		.amdhsa_wavefront_size32 1
		.amdhsa_uses_dynamic_stack 0
		.amdhsa_enable_private_segment 0
		.amdhsa_system_sgpr_workgroup_id_x 1
		.amdhsa_system_sgpr_workgroup_id_y 0
		.amdhsa_system_sgpr_workgroup_id_z 0
		.amdhsa_system_sgpr_workgroup_info 0
		.amdhsa_system_vgpr_workitem_id 0
		.amdhsa_next_free_vgpr 98
		.amdhsa_next_free_sgpr 39
		.amdhsa_reserve_vcc 1
		.amdhsa_float_round_mode_32 0
		.amdhsa_float_round_mode_16_64 0
		.amdhsa_float_denorm_mode_32 3
		.amdhsa_float_denorm_mode_16_64 3
		.amdhsa_fp16_overflow 0
		.amdhsa_workgroup_processor_mode 1
		.amdhsa_memory_ordered 1
		.amdhsa_forward_progress 0
		.amdhsa_round_robin_scheduling 0
		.amdhsa_exception_fp_ieee_invalid_op 0
		.amdhsa_exception_fp_denorm_src 0
		.amdhsa_exception_fp_ieee_div_zero 0
		.amdhsa_exception_fp_ieee_overflow 0
		.amdhsa_exception_fp_ieee_underflow 0
		.amdhsa_exception_fp_ieee_inexact 0
		.amdhsa_exception_int_div_zero 0
	.end_amdhsa_kernel
	.text
.Lfunc_end0:
	.size	fft_rtc_fwd_len1650_factors_11_2_3_5_5_wgs_110_tpt_110_halfLds_sp_op_CI_CI_unitstride_sbrr_C2R_dirReg, .Lfunc_end0-fft_rtc_fwd_len1650_factors_11_2_3_5_5_wgs_110_tpt_110_halfLds_sp_op_CI_CI_unitstride_sbrr_C2R_dirReg
                                        ; -- End function
	.section	.AMDGPU.csdata,"",@progbits
; Kernel info:
; codeLenInByte = 15180
; NumSgprs: 41
; NumVgprs: 98
; ScratchSize: 0
; MemoryBound: 0
; FloatMode: 240
; IeeeMode: 1
; LDSByteSize: 0 bytes/workgroup (compile time only)
; SGPRBlocks: 5
; VGPRBlocks: 12
; NumSGPRsForWavesPerEU: 41
; NumVGPRsForWavesPerEU: 98
; Occupancy: 12
; WaveLimiterHint : 1
; COMPUTE_PGM_RSRC2:SCRATCH_EN: 0
; COMPUTE_PGM_RSRC2:USER_SGPR: 2
; COMPUTE_PGM_RSRC2:TRAP_HANDLER: 0
; COMPUTE_PGM_RSRC2:TGID_X_EN: 1
; COMPUTE_PGM_RSRC2:TGID_Y_EN: 0
; COMPUTE_PGM_RSRC2:TGID_Z_EN: 0
; COMPUTE_PGM_RSRC2:TIDIG_COMP_CNT: 0
	.text
	.p2alignl 7, 3214868480
	.fill 96, 4, 3214868480
	.type	__hip_cuid_32ff52edaa75b8da,@object ; @__hip_cuid_32ff52edaa75b8da
	.section	.bss,"aw",@nobits
	.globl	__hip_cuid_32ff52edaa75b8da
__hip_cuid_32ff52edaa75b8da:
	.byte	0                               ; 0x0
	.size	__hip_cuid_32ff52edaa75b8da, 1

	.ident	"AMD clang version 19.0.0git (https://github.com/RadeonOpenCompute/llvm-project roc-6.4.0 25133 c7fe45cf4b819c5991fe208aaa96edf142730f1d)"
	.section	".note.GNU-stack","",@progbits
	.addrsig
	.addrsig_sym __hip_cuid_32ff52edaa75b8da
	.amdgpu_metadata
---
amdhsa.kernels:
  - .args:
      - .actual_access:  read_only
        .address_space:  global
        .offset:         0
        .size:           8
        .value_kind:     global_buffer
      - .offset:         8
        .size:           8
        .value_kind:     by_value
      - .actual_access:  read_only
        .address_space:  global
        .offset:         16
        .size:           8
        .value_kind:     global_buffer
      - .actual_access:  read_only
        .address_space:  global
        .offset:         24
        .size:           8
        .value_kind:     global_buffer
      - .actual_access:  read_only
        .address_space:  global
        .offset:         32
        .size:           8
        .value_kind:     global_buffer
      - .offset:         40
        .size:           8
        .value_kind:     by_value
      - .actual_access:  read_only
        .address_space:  global
        .offset:         48
        .size:           8
        .value_kind:     global_buffer
      - .actual_access:  read_only
        .address_space:  global
        .offset:         56
        .size:           8
        .value_kind:     global_buffer
      - .offset:         64
        .size:           4
        .value_kind:     by_value
      - .actual_access:  read_only
        .address_space:  global
        .offset:         72
        .size:           8
        .value_kind:     global_buffer
      - .actual_access:  read_only
        .address_space:  global
        .offset:         80
        .size:           8
        .value_kind:     global_buffer
      - .actual_access:  read_only
        .address_space:  global
        .offset:         88
        .size:           8
        .value_kind:     global_buffer
      - .actual_access:  write_only
        .address_space:  global
        .offset:         96
        .size:           8
        .value_kind:     global_buffer
    .group_segment_fixed_size: 0
    .kernarg_segment_align: 8
    .kernarg_segment_size: 104
    .language:       OpenCL C
    .language_version:
      - 2
      - 0
    .max_flat_workgroup_size: 110
    .name:           fft_rtc_fwd_len1650_factors_11_2_3_5_5_wgs_110_tpt_110_halfLds_sp_op_CI_CI_unitstride_sbrr_C2R_dirReg
    .private_segment_fixed_size: 0
    .sgpr_count:     41
    .sgpr_spill_count: 0
    .symbol:         fft_rtc_fwd_len1650_factors_11_2_3_5_5_wgs_110_tpt_110_halfLds_sp_op_CI_CI_unitstride_sbrr_C2R_dirReg.kd
    .uniform_work_group_size: 1
    .uses_dynamic_stack: false
    .vgpr_count:     98
    .vgpr_spill_count: 0
    .wavefront_size: 32
    .workgroup_processor_mode: 1
amdhsa.target:   amdgcn-amd-amdhsa--gfx1201
amdhsa.version:
  - 1
  - 2
...

	.end_amdgpu_metadata
